;; amdgpu-corpus repo=ROCm/rocFFT kind=compiled arch=gfx1201 opt=O3
	.text
	.amdgcn_target "amdgcn-amd-amdhsa--gfx1201"
	.amdhsa_code_object_version 6
	.protected	fft_rtc_back_len2002_factors_2_13_7_11_wgs_182_tpt_182_halfLds_half_op_CI_CI_unitstride_sbrr_C2R_dirReg ; -- Begin function fft_rtc_back_len2002_factors_2_13_7_11_wgs_182_tpt_182_halfLds_half_op_CI_CI_unitstride_sbrr_C2R_dirReg
	.globl	fft_rtc_back_len2002_factors_2_13_7_11_wgs_182_tpt_182_halfLds_half_op_CI_CI_unitstride_sbrr_C2R_dirReg
	.p2align	8
	.type	fft_rtc_back_len2002_factors_2_13_7_11_wgs_182_tpt_182_halfLds_half_op_CI_CI_unitstride_sbrr_C2R_dirReg,@function
fft_rtc_back_len2002_factors_2_13_7_11_wgs_182_tpt_182_halfLds_half_op_CI_CI_unitstride_sbrr_C2R_dirReg: ; @fft_rtc_back_len2002_factors_2_13_7_11_wgs_182_tpt_182_halfLds_half_op_CI_CI_unitstride_sbrr_C2R_dirReg
; %bb.0:
	s_clause 0x2
	s_load_b128 s[8:11], s[0:1], 0x0
	s_load_b128 s[4:7], s[0:1], 0x58
	;; [unrolled: 1-line block ×3, first 2 shown]
	v_mul_u32_u24_e32 v1, 0x169, v0
	v_mov_b32_e32 v3, 0
	v_mov_b32_e32 v7, 0
	;; [unrolled: 1-line block ×3, first 2 shown]
	s_delay_alu instid0(VALU_DEP_4) | instskip(NEXT) | instid1(VALU_DEP_1)
	v_lshrrev_b32_e32 v1, 16, v1
	v_dual_mov_b32 v10, v3 :: v_dual_add_nc_u32 v9, ttmp9, v1
	s_wait_kmcnt 0x0
	v_cmp_lt_u64_e64 s2, s[10:11], 2
	s_delay_alu instid0(VALU_DEP_1)
	s_and_b32 vcc_lo, exec_lo, s2
	s_cbranch_vccnz .LBB0_8
; %bb.1:
	s_load_b64 s[2:3], s[0:1], 0x10
	v_mov_b32_e32 v7, 0
	v_mov_b32_e32 v8, 0
	s_delay_alu instid0(VALU_DEP_2)
	v_mov_b32_e32 v1, v7
	s_add_nc_u64 s[16:17], s[14:15], 8
	s_add_nc_u64 s[18:19], s[12:13], 8
	s_mov_b64 s[20:21], 1
	v_mov_b32_e32 v2, v8
	s_wait_kmcnt 0x0
	s_add_nc_u64 s[22:23], s[2:3], 8
	s_mov_b32 s3, 0
.LBB0_2:                                ; =>This Inner Loop Header: Depth=1
	s_load_b64 s[24:25], s[22:23], 0x0
                                        ; implicit-def: $vgpr5_vgpr6
	s_mov_b32 s2, exec_lo
	s_wait_kmcnt 0x0
	v_or_b32_e32 v4, s25, v10
	s_delay_alu instid0(VALU_DEP_1)
	v_cmpx_ne_u64_e32 0, v[3:4]
	s_wait_alu 0xfffe
	s_xor_b32 s26, exec_lo, s2
	s_cbranch_execz .LBB0_4
; %bb.3:                                ;   in Loop: Header=BB0_2 Depth=1
	s_cvt_f32_u32 s2, s24
	s_cvt_f32_u32 s27, s25
	s_sub_nc_u64 s[30:31], 0, s[24:25]
	s_wait_alu 0xfffe
	s_delay_alu instid0(SALU_CYCLE_1) | instskip(SKIP_1) | instid1(SALU_CYCLE_2)
	s_fmamk_f32 s2, s27, 0x4f800000, s2
	s_wait_alu 0xfffe
	v_s_rcp_f32 s2, s2
	s_delay_alu instid0(TRANS32_DEP_1) | instskip(SKIP_1) | instid1(SALU_CYCLE_2)
	s_mul_f32 s2, s2, 0x5f7ffffc
	s_wait_alu 0xfffe
	s_mul_f32 s27, s2, 0x2f800000
	s_wait_alu 0xfffe
	s_delay_alu instid0(SALU_CYCLE_2) | instskip(SKIP_1) | instid1(SALU_CYCLE_2)
	s_trunc_f32 s27, s27
	s_wait_alu 0xfffe
	s_fmamk_f32 s2, s27, 0xcf800000, s2
	s_cvt_u32_f32 s29, s27
	s_wait_alu 0xfffe
	s_delay_alu instid0(SALU_CYCLE_1) | instskip(SKIP_1) | instid1(SALU_CYCLE_2)
	s_cvt_u32_f32 s28, s2
	s_wait_alu 0xfffe
	s_mul_u64 s[34:35], s[30:31], s[28:29]
	s_wait_alu 0xfffe
	s_mul_hi_u32 s37, s28, s35
	s_mul_i32 s36, s28, s35
	s_mul_hi_u32 s2, s28, s34
	s_mul_i32 s33, s29, s34
	s_wait_alu 0xfffe
	s_add_nc_u64 s[36:37], s[2:3], s[36:37]
	s_mul_hi_u32 s27, s29, s34
	s_mul_hi_u32 s38, s29, s35
	s_add_co_u32 s2, s36, s33
	s_wait_alu 0xfffe
	s_add_co_ci_u32 s2, s37, s27
	s_mul_i32 s34, s29, s35
	s_add_co_ci_u32 s35, s38, 0
	s_wait_alu 0xfffe
	s_add_nc_u64 s[34:35], s[2:3], s[34:35]
	s_wait_alu 0xfffe
	v_add_co_u32 v4, s2, s28, s34
	s_delay_alu instid0(VALU_DEP_1) | instskip(SKIP_1) | instid1(VALU_DEP_1)
	s_cmp_lg_u32 s2, 0
	s_add_co_ci_u32 s29, s29, s35
	v_readfirstlane_b32 s28, v4
	s_wait_alu 0xfffe
	s_delay_alu instid0(VALU_DEP_1)
	s_mul_u64 s[30:31], s[30:31], s[28:29]
	s_wait_alu 0xfffe
	s_mul_hi_u32 s35, s28, s31
	s_mul_i32 s34, s28, s31
	s_mul_hi_u32 s2, s28, s30
	s_mul_i32 s33, s29, s30
	s_wait_alu 0xfffe
	s_add_nc_u64 s[34:35], s[2:3], s[34:35]
	s_mul_hi_u32 s27, s29, s30
	s_mul_hi_u32 s28, s29, s31
	s_wait_alu 0xfffe
	s_add_co_u32 s2, s34, s33
	s_add_co_ci_u32 s2, s35, s27
	s_mul_i32 s30, s29, s31
	s_add_co_ci_u32 s31, s28, 0
	s_wait_alu 0xfffe
	s_add_nc_u64 s[30:31], s[2:3], s[30:31]
	s_wait_alu 0xfffe
	v_add_co_u32 v6, s2, v4, s30
	s_delay_alu instid0(VALU_DEP_1) | instskip(SKIP_1) | instid1(VALU_DEP_1)
	s_cmp_lg_u32 s2, 0
	s_add_co_ci_u32 s2, s29, s31
	v_mul_hi_u32 v15, v9, v6
	s_wait_alu 0xfffe
	v_mad_co_u64_u32 v[4:5], null, v9, s2, 0
	v_mad_co_u64_u32 v[11:12], null, v10, v6, 0
	;; [unrolled: 1-line block ×3, first 2 shown]
	s_delay_alu instid0(VALU_DEP_3) | instskip(SKIP_1) | instid1(VALU_DEP_4)
	v_add_co_u32 v4, vcc_lo, v15, v4
	s_wait_alu 0xfffd
	v_add_co_ci_u32_e32 v5, vcc_lo, 0, v5, vcc_lo
	s_delay_alu instid0(VALU_DEP_2) | instskip(SKIP_1) | instid1(VALU_DEP_2)
	v_add_co_u32 v4, vcc_lo, v4, v11
	s_wait_alu 0xfffd
	v_add_co_ci_u32_e32 v4, vcc_lo, v5, v12, vcc_lo
	s_wait_alu 0xfffd
	v_add_co_ci_u32_e32 v5, vcc_lo, 0, v14, vcc_lo
	s_delay_alu instid0(VALU_DEP_2) | instskip(SKIP_1) | instid1(VALU_DEP_2)
	v_add_co_u32 v11, vcc_lo, v4, v13
	s_wait_alu 0xfffd
	v_add_co_ci_u32_e32 v6, vcc_lo, 0, v5, vcc_lo
	s_delay_alu instid0(VALU_DEP_2) | instskip(SKIP_1) | instid1(VALU_DEP_3)
	v_mul_lo_u32 v12, s25, v11
	v_mad_co_u64_u32 v[4:5], null, s24, v11, 0
	v_mul_lo_u32 v13, s24, v6
	s_delay_alu instid0(VALU_DEP_2) | instskip(NEXT) | instid1(VALU_DEP_2)
	v_sub_co_u32 v4, vcc_lo, v9, v4
	v_add3_u32 v5, v5, v13, v12
	s_delay_alu instid0(VALU_DEP_1) | instskip(SKIP_1) | instid1(VALU_DEP_1)
	v_sub_nc_u32_e32 v12, v10, v5
	s_wait_alu 0xfffd
	v_subrev_co_ci_u32_e64 v12, s2, s25, v12, vcc_lo
	v_add_co_u32 v13, s2, v11, 2
	s_wait_alu 0xf1ff
	v_add_co_ci_u32_e64 v14, s2, 0, v6, s2
	v_sub_co_u32 v15, s2, v4, s24
	v_sub_co_ci_u32_e32 v5, vcc_lo, v10, v5, vcc_lo
	s_wait_alu 0xf1ff
	v_subrev_co_ci_u32_e64 v12, s2, 0, v12, s2
	s_delay_alu instid0(VALU_DEP_3) | instskip(NEXT) | instid1(VALU_DEP_3)
	v_cmp_le_u32_e32 vcc_lo, s24, v15
	v_cmp_eq_u32_e64 s2, s25, v5
	s_wait_alu 0xfffd
	v_cndmask_b32_e64 v15, 0, -1, vcc_lo
	v_cmp_le_u32_e32 vcc_lo, s25, v12
	s_wait_alu 0xfffd
	v_cndmask_b32_e64 v16, 0, -1, vcc_lo
	v_cmp_le_u32_e32 vcc_lo, s24, v4
	;; [unrolled: 3-line block ×3, first 2 shown]
	s_wait_alu 0xfffd
	v_cndmask_b32_e64 v17, 0, -1, vcc_lo
	v_cmp_eq_u32_e32 vcc_lo, s25, v12
	s_wait_alu 0xf1ff
	s_delay_alu instid0(VALU_DEP_2)
	v_cndmask_b32_e64 v4, v17, v4, s2
	s_wait_alu 0xfffd
	v_cndmask_b32_e32 v12, v16, v15, vcc_lo
	v_add_co_u32 v15, vcc_lo, v11, 1
	s_wait_alu 0xfffd
	v_add_co_ci_u32_e32 v16, vcc_lo, 0, v6, vcc_lo
	s_delay_alu instid0(VALU_DEP_3) | instskip(SKIP_1) | instid1(VALU_DEP_2)
	v_cmp_ne_u32_e32 vcc_lo, 0, v12
	s_wait_alu 0xfffd
	v_dual_cndmask_b32 v5, v16, v14 :: v_dual_cndmask_b32 v12, v15, v13
	v_cmp_ne_u32_e32 vcc_lo, 0, v4
	s_wait_alu 0xfffd
	s_delay_alu instid0(VALU_DEP_2)
	v_dual_cndmask_b32 v6, v6, v5 :: v_dual_cndmask_b32 v5, v11, v12
.LBB0_4:                                ;   in Loop: Header=BB0_2 Depth=1
	s_wait_alu 0xfffe
	s_and_not1_saveexec_b32 s2, s26
	s_cbranch_execz .LBB0_6
; %bb.5:                                ;   in Loop: Header=BB0_2 Depth=1
	v_cvt_f32_u32_e32 v4, s24
	s_sub_co_i32 s26, 0, s24
	s_delay_alu instid0(VALU_DEP_1) | instskip(NEXT) | instid1(TRANS32_DEP_1)
	v_rcp_iflag_f32_e32 v4, v4
	v_mul_f32_e32 v4, 0x4f7ffffe, v4
	s_delay_alu instid0(VALU_DEP_1) | instskip(SKIP_1) | instid1(VALU_DEP_1)
	v_cvt_u32_f32_e32 v4, v4
	s_wait_alu 0xfffe
	v_mul_lo_u32 v5, s26, v4
	s_delay_alu instid0(VALU_DEP_1) | instskip(NEXT) | instid1(VALU_DEP_1)
	v_mul_hi_u32 v5, v4, v5
	v_add_nc_u32_e32 v4, v4, v5
	s_delay_alu instid0(VALU_DEP_1) | instskip(NEXT) | instid1(VALU_DEP_1)
	v_mul_hi_u32 v4, v9, v4
	v_mul_lo_u32 v5, v4, s24
	v_add_nc_u32_e32 v6, 1, v4
	s_delay_alu instid0(VALU_DEP_2) | instskip(NEXT) | instid1(VALU_DEP_1)
	v_sub_nc_u32_e32 v5, v9, v5
	v_subrev_nc_u32_e32 v11, s24, v5
	v_cmp_le_u32_e32 vcc_lo, s24, v5
	s_wait_alu 0xfffd
	s_delay_alu instid0(VALU_DEP_2) | instskip(NEXT) | instid1(VALU_DEP_1)
	v_dual_cndmask_b32 v5, v5, v11 :: v_dual_cndmask_b32 v4, v4, v6
	v_cmp_le_u32_e32 vcc_lo, s24, v5
	s_delay_alu instid0(VALU_DEP_2) | instskip(SKIP_1) | instid1(VALU_DEP_1)
	v_add_nc_u32_e32 v6, 1, v4
	s_wait_alu 0xfffd
	v_dual_cndmask_b32 v5, v4, v6 :: v_dual_mov_b32 v6, v3
.LBB0_6:                                ;   in Loop: Header=BB0_2 Depth=1
	s_wait_alu 0xfffe
	s_or_b32 exec_lo, exec_lo, s2
	s_delay_alu instid0(VALU_DEP_1) | instskip(NEXT) | instid1(VALU_DEP_2)
	v_mul_lo_u32 v4, v6, s24
	v_mul_lo_u32 v13, v5, s25
	s_load_b64 s[26:27], s[18:19], 0x0
	v_mad_co_u64_u32 v[11:12], null, v5, s24, 0
	s_load_b64 s[24:25], s[16:17], 0x0
	s_add_nc_u64 s[20:21], s[20:21], 1
	s_add_nc_u64 s[16:17], s[16:17], 8
	s_wait_alu 0xfffe
	v_cmp_ge_u64_e64 s2, s[20:21], s[10:11]
	s_add_nc_u64 s[18:19], s[18:19], 8
	s_add_nc_u64 s[22:23], s[22:23], 8
	v_add3_u32 v4, v12, v13, v4
	v_sub_co_u32 v9, vcc_lo, v9, v11
	s_wait_alu 0xfffd
	s_delay_alu instid0(VALU_DEP_2) | instskip(SKIP_2) | instid1(VALU_DEP_1)
	v_sub_co_ci_u32_e32 v4, vcc_lo, v10, v4, vcc_lo
	s_and_b32 vcc_lo, exec_lo, s2
	s_wait_kmcnt 0x0
	v_mul_lo_u32 v10, s26, v4
	v_mul_lo_u32 v11, s27, v9
	v_mad_co_u64_u32 v[7:8], null, s26, v9, v[7:8]
	v_mul_lo_u32 v4, s24, v4
	v_mul_lo_u32 v12, s25, v9
	v_mad_co_u64_u32 v[1:2], null, s24, v9, v[1:2]
	s_delay_alu instid0(VALU_DEP_4) | instskip(NEXT) | instid1(VALU_DEP_2)
	v_add3_u32 v8, v11, v8, v10
	v_add3_u32 v2, v12, v2, v4
	s_wait_alu 0xfffe
	s_cbranch_vccnz .LBB0_9
; %bb.7:                                ;   in Loop: Header=BB0_2 Depth=1
	v_dual_mov_b32 v10, v6 :: v_dual_mov_b32 v9, v5
	s_branch .LBB0_2
.LBB0_8:
	v_dual_mov_b32 v1, v7 :: v_dual_mov_b32 v2, v8
	v_dual_mov_b32 v5, v9 :: v_dual_mov_b32 v6, v10
.LBB0_9:
	s_load_b64 s[0:1], s[0:1], 0x28
	v_mul_hi_u32 v4, 0x1681682, v0
	s_lshl_b64 s[10:11], s[10:11], 3
                                        ; implicit-def: $vgpr3
	s_wait_alu 0xfffe
	s_add_nc_u64 s[2:3], s[14:15], s[10:11]
	s_wait_kmcnt 0x0
	v_cmp_gt_u64_e32 vcc_lo, s[0:1], v[5:6]
	v_cmp_le_u64_e64 s0, s[0:1], v[5:6]
	s_delay_alu instid0(VALU_DEP_1)
	s_and_saveexec_b32 s1, s0
	s_wait_alu 0xfffe
	s_xor_b32 s0, exec_lo, s1
; %bb.10:
	v_mul_u32_u24_e32 v3, 0xb6, v4
                                        ; implicit-def: $vgpr4
                                        ; implicit-def: $vgpr7_vgpr8
	s_delay_alu instid0(VALU_DEP_1)
	v_sub_nc_u32_e32 v3, v0, v3
                                        ; implicit-def: $vgpr0
; %bb.11:
	s_wait_alu 0xfffe
	s_or_saveexec_b32 s1, s0
	s_load_b64 s[2:3], s[2:3], 0x0
	s_xor_b32 exec_lo, exec_lo, s1
	s_cbranch_execz .LBB0_15
; %bb.12:
	s_add_nc_u64 s[10:11], s[12:13], s[10:11]
	v_lshlrev_b64_e32 v[7:8], 2, v[7:8]
	s_load_b64 s[10:11], s[10:11], 0x0
	s_wait_kmcnt 0x0
	v_mul_lo_u32 v3, s11, v5
	v_mul_lo_u32 v11, s10, v6
	v_mad_co_u64_u32 v[9:10], null, s10, v5, 0
	s_delay_alu instid0(VALU_DEP_1) | instskip(SKIP_1) | instid1(VALU_DEP_2)
	v_add3_u32 v10, v10, v11, v3
	v_mul_u32_u24_e32 v3, 0xb6, v4
	v_lshlrev_b64_e32 v[9:10], 2, v[9:10]
	s_delay_alu instid0(VALU_DEP_2) | instskip(NEXT) | instid1(VALU_DEP_1)
	v_sub_nc_u32_e32 v3, v0, v3
	v_lshlrev_b32_e32 v11, 2, v3
	s_delay_alu instid0(VALU_DEP_3) | instskip(SKIP_1) | instid1(VALU_DEP_4)
	v_add_co_u32 v0, s0, s4, v9
	s_wait_alu 0xf1ff
	v_add_co_ci_u32_e64 v4, s0, s5, v10, s0
	s_mov_b32 s4, exec_lo
	s_delay_alu instid0(VALU_DEP_2) | instskip(SKIP_1) | instid1(VALU_DEP_2)
	v_add_co_u32 v7, s0, v0, v7
	s_wait_alu 0xf1ff
	v_add_co_ci_u32_e64 v8, s0, v4, v8, s0
	s_delay_alu instid0(VALU_DEP_2) | instskip(SKIP_1) | instid1(VALU_DEP_2)
	v_add_co_u32 v9, s0, v7, v11
	s_wait_alu 0xf1ff
	v_add_co_ci_u32_e64 v10, s0, 0, v8, s0
	s_clause 0xa
	global_load_b32 v0, v[9:10], off
	global_load_b32 v4, v[9:10], off offset:728
	global_load_b32 v12, v[9:10], off offset:1456
	;; [unrolled: 1-line block ×10, first 2 shown]
	v_add_nc_u32_e32 v10, 0, v11
	s_delay_alu instid0(VALU_DEP_1)
	v_add_nc_u32_e32 v11, 0x500, v10
	v_add_nc_u32_e32 v20, 0xb00, v10
	;; [unrolled: 1-line block ×4, first 2 shown]
	s_wait_loadcnt 0x9
	ds_store_2addr_b32 v10, v0, v4 offset1:182
	s_wait_loadcnt 0x7
	ds_store_2addr_b32 v11, v12, v13 offset0:44 offset1:226
	s_wait_loadcnt 0x5
	ds_store_2addr_b32 v20, v14, v15 offset0:24 offset1:206
	;; [unrolled: 2-line block ×4, first 2 shown]
	s_wait_loadcnt 0x0
	ds_store_b32 v10, v9 offset:7280
	v_cmpx_eq_u32_e32 0xb5, v3
	s_cbranch_execz .LBB0_14
; %bb.13:
	global_load_b32 v0, v[7:8], off offset:8008
	v_dual_mov_b32 v4, 0 :: v_dual_mov_b32 v3, 0xb5
	s_wait_loadcnt 0x0
	ds_store_b32 v4, v0 offset:8008
.LBB0_14:
	s_wait_alu 0xfffe
	s_or_b32 exec_lo, exec_lo, s4
.LBB0_15:
	s_delay_alu instid0(SALU_CYCLE_1)
	s_or_b32 exec_lo, exec_lo, s1
	v_lshlrev_b32_e32 v4, 2, v3
	global_wb scope:SCOPE_SE
	s_wait_dscnt 0x0
	s_wait_kmcnt 0x0
	s_barrier_signal -1
	s_barrier_wait -1
	global_inv scope:SCOPE_SE
	v_add_nc_u32_e32 v0, 0, v4
	v_sub_nc_u32_e32 v9, 0, v4
	s_mov_b32 s1, exec_lo
                                        ; implicit-def: $vgpr7_vgpr8
	ds_load_u16 v12, v0
	ds_load_u16 v13, v9 offset:8008
	s_wait_dscnt 0x0
	v_add_f16_e32 v11, v13, v12
	v_sub_f16_e32 v10, v12, v13
	v_cmpx_ne_u32_e32 0, v3
	s_wait_alu 0xfffe
	s_xor_b32 s1, exec_lo, s1
	s_cbranch_execz .LBB0_17
; %bb.16:
	v_mov_b32_e32 v4, 0
	v_add_f16_e32 v11, v13, v12
	v_sub_f16_e32 v12, v12, v13
	s_delay_alu instid0(VALU_DEP_3) | instskip(NEXT) | instid1(VALU_DEP_1)
	v_lshlrev_b64_e32 v[7:8], 2, v[3:4]
	v_add_co_u32 v7, s0, s8, v7
	s_wait_alu 0xf1ff
	s_delay_alu instid0(VALU_DEP_2)
	v_add_co_ci_u32_e64 v8, s0, s9, v8, s0
	global_load_b32 v7, v[7:8], off offset:8000
	ds_load_u16 v8, v9 offset:8010
	ds_load_u16 v10, v0 offset:2
	s_wait_dscnt 0x0
	v_add_f16_e32 v13, v8, v10
	v_sub_f16_e32 v8, v10, v8
	s_wait_loadcnt 0x0
	v_lshrrev_b32_e32 v14, 16, v7
	s_delay_alu instid0(VALU_DEP_1) | instskip(NEXT) | instid1(VALU_DEP_3)
	v_fma_f16 v15, -v12, v14, v11
	v_fma_f16 v16, v13, v14, -v8
	v_fma_f16 v10, v13, v14, v8
	v_fma_f16 v11, v12, v14, v11
	s_delay_alu instid0(VALU_DEP_4) | instskip(NEXT) | instid1(VALU_DEP_4)
	v_fmac_f16_e32 v15, v7, v13
	v_fmac_f16_e32 v16, v12, v7
	s_delay_alu instid0(VALU_DEP_4) | instskip(NEXT) | instid1(VALU_DEP_4)
	v_fmac_f16_e32 v10, v12, v7
	v_fma_f16 v11, -v7, v13, v11
	v_dual_mov_b32 v8, v4 :: v_dual_mov_b32 v7, v3
	s_delay_alu instid0(VALU_DEP_4)
	v_pack_b32_f16 v12, v15, v16
	ds_store_b32 v9, v12 offset:8008
.LBB0_17:
	s_wait_alu 0xfffe
	s_and_not1_saveexec_b32 s0, s1
	s_cbranch_execz .LBB0_19
; %bb.18:
	v_mov_b32_e32 v4, 0
	ds_load_b32 v7, v4 offset:4004
	s_wait_dscnt 0x0
	v_pk_mul_f16 v12, 0xc0004000, v7
	v_mov_b32_e32 v7, 0
	v_mov_b32_e32 v8, 0
	ds_store_b32 v4, v12 offset:4004
.LBB0_19:
	s_wait_alu 0xfffe
	s_or_b32 exec_lo, exec_lo, s0
	v_lshlrev_b64_e32 v[7:8], 2, v[7:8]
	s_add_nc_u64 s[0:1], s[8:9], 0x1f40
	v_perm_b32 v10, v10, v11, 0x5040100
	s_wait_alu 0xfffe
	s_delay_alu instid0(VALU_DEP_2)
	v_add_co_u32 v7, s0, s0, v7
	s_wait_alu 0xf1ff
	v_add_co_ci_u32_e64 v8, s0, s1, v8, s0
	v_cmp_gt_u32_e64 s0, 0x5b, v3
	s_clause 0x3
	global_load_b32 v4, v[7:8], off offset:728
	global_load_b32 v12, v[7:8], off offset:1456
	;; [unrolled: 1-line block ×4, first 2 shown]
	ds_store_b32 v0, v10
	ds_load_b32 v10, v0 offset:728
	ds_load_b32 v11, v9 offset:7280
	s_wait_dscnt 0x1
	v_lshrrev_b32_e32 v15, 16, v10
	s_wait_dscnt 0x0
	v_lshrrev_b32_e32 v16, 16, v11
	v_add_f16_e32 v17, v10, v11
	v_sub_f16_e32 v10, v10, v11
	s_delay_alu instid0(VALU_DEP_3) | instskip(SKIP_3) | instid1(VALU_DEP_1)
	v_add_f16_e32 v11, v16, v15
	v_sub_f16_e32 v15, v15, v16
	s_wait_loadcnt 0x3
	v_lshrrev_b32_e32 v18, 16, v4
	v_fma_f16 v16, v10, v18, v17
	s_delay_alu instid0(VALU_DEP_3) | instskip(SKIP_2) | instid1(VALU_DEP_4)
	v_fma_f16 v19, v11, v18, v15
	v_fma_f16 v17, -v10, v18, v17
	v_fma_f16 v15, v11, v18, -v15
	v_fma_f16 v16, -v4, v11, v16
	s_delay_alu instid0(VALU_DEP_4) | instskip(NEXT) | instid1(VALU_DEP_4)
	v_fmac_f16_e32 v19, v10, v4
	v_fmac_f16_e32 v17, v4, v11
	s_delay_alu instid0(VALU_DEP_4) | instskip(NEXT) | instid1(VALU_DEP_3)
	v_fmac_f16_e32 v15, v10, v4
	v_pack_b32_f16 v4, v16, v19
	s_wait_loadcnt 0x2
	v_lshrrev_b32_e32 v16, 16, v12
	s_delay_alu instid0(VALU_DEP_3)
	v_pack_b32_f16 v10, v17, v15
	ds_store_b32 v0, v4 offset:728
	ds_store_b32 v9, v10 offset:7280
	ds_load_b32 v4, v0 offset:1456
	ds_load_b32 v10, v9 offset:6552
	s_wait_dscnt 0x1
	v_lshrrev_b32_e32 v11, 16, v4
	s_wait_dscnt 0x0
	v_lshrrev_b32_e32 v15, 16, v10
	v_add_f16_e32 v17, v4, v10
	v_sub_f16_e32 v4, v4, v10
	s_delay_alu instid0(VALU_DEP_3) | instskip(SKIP_1) | instid1(VALU_DEP_3)
	v_add_f16_e32 v10, v15, v11
	v_sub_f16_e32 v11, v11, v15
	v_fma_f16 v15, v4, v16, v17
	v_fma_f16 v17, -v4, v16, v17
	s_delay_alu instid0(VALU_DEP_3) | instskip(SKIP_1) | instid1(VALU_DEP_4)
	v_fma_f16 v18, v10, v16, v11
	v_fma_f16 v11, v10, v16, -v11
	v_fma_f16 v15, -v12, v10, v15
	s_delay_alu instid0(VALU_DEP_4) | instskip(NEXT) | instid1(VALU_DEP_4)
	v_fmac_f16_e32 v17, v12, v10
	v_fmac_f16_e32 v18, v4, v12
	s_delay_alu instid0(VALU_DEP_4) | instskip(NEXT) | instid1(VALU_DEP_2)
	v_fmac_f16_e32 v11, v4, v12
	v_pack_b32_f16 v4, v15, v18
	s_delay_alu instid0(VALU_DEP_2)
	v_pack_b32_f16 v10, v17, v11
	ds_store_b32 v0, v4 offset:1456
	ds_store_b32 v9, v10 offset:6552
	ds_load_b32 v4, v0 offset:2184
	ds_load_b32 v10, v9 offset:5824
	s_wait_loadcnt 0x1
	v_lshrrev_b32_e32 v15, 16, v13
	s_wait_dscnt 0x1
	v_lshrrev_b32_e32 v11, 16, v4
	s_wait_dscnt 0x0
	v_lshrrev_b32_e32 v12, 16, v10
	v_add_f16_e32 v16, v4, v10
	v_sub_f16_e32 v4, v4, v10
	s_delay_alu instid0(VALU_DEP_3) | instskip(SKIP_1) | instid1(VALU_DEP_3)
	v_add_f16_e32 v10, v12, v11
	v_sub_f16_e32 v11, v11, v12
	v_fma_f16 v12, v4, v15, v16
	v_fma_f16 v16, -v4, v15, v16
	s_delay_alu instid0(VALU_DEP_3) | instskip(SKIP_1) | instid1(VALU_DEP_4)
	v_fma_f16 v17, v10, v15, v11
	v_fma_f16 v11, v10, v15, -v11
	v_fma_f16 v12, -v13, v10, v12
	s_delay_alu instid0(VALU_DEP_4) | instskip(NEXT) | instid1(VALU_DEP_4)
	v_fmac_f16_e32 v16, v13, v10
	v_fmac_f16_e32 v17, v4, v13
	s_delay_alu instid0(VALU_DEP_4) | instskip(SKIP_2) | instid1(VALU_DEP_3)
	v_fmac_f16_e32 v11, v4, v13
	s_wait_loadcnt 0x0
	v_lshrrev_b32_e32 v13, 16, v14
	v_pack_b32_f16 v4, v12, v17
	s_delay_alu instid0(VALU_DEP_3)
	v_pack_b32_f16 v10, v16, v11
	ds_store_b32 v0, v4 offset:2184
	ds_store_b32 v9, v10 offset:5824
	ds_load_b32 v4, v0 offset:2912
	ds_load_b32 v10, v9 offset:5096
	s_wait_dscnt 0x1
	v_lshrrev_b32_e32 v11, 16, v4
	s_wait_dscnt 0x0
	v_lshrrev_b32_e32 v12, 16, v10
	v_add_f16_e32 v15, v4, v10
	v_sub_f16_e32 v4, v4, v10
	s_delay_alu instid0(VALU_DEP_3) | instskip(SKIP_1) | instid1(VALU_DEP_3)
	v_add_f16_e32 v10, v12, v11
	v_sub_f16_e32 v11, v11, v12
	v_fma_f16 v12, v4, v13, v15
	v_fma_f16 v15, -v4, v13, v15
	s_delay_alu instid0(VALU_DEP_3) | instskip(SKIP_1) | instid1(VALU_DEP_4)
	v_fma_f16 v16, v10, v13, v11
	v_fma_f16 v11, v10, v13, -v11
	v_fma_f16 v12, -v14, v10, v12
	s_delay_alu instid0(VALU_DEP_4) | instskip(NEXT) | instid1(VALU_DEP_4)
	v_fmac_f16_e32 v15, v14, v10
	v_fmac_f16_e32 v16, v4, v14
	s_delay_alu instid0(VALU_DEP_4) | instskip(NEXT) | instid1(VALU_DEP_2)
	v_fmac_f16_e32 v11, v4, v14
	v_pack_b32_f16 v4, v12, v16
	s_delay_alu instid0(VALU_DEP_2)
	v_pack_b32_f16 v10, v15, v11
	ds_store_b32 v0, v4 offset:2912
	ds_store_b32 v9, v10 offset:5096
	s_and_saveexec_b32 s1, s0
	s_cbranch_execz .LBB0_21
; %bb.20:
	global_load_b32 v4, v[7:8], off offset:3640
	ds_load_b32 v7, v0 offset:3640
	ds_load_b32 v8, v9 offset:4368
	s_wait_dscnt 0x1
	v_lshrrev_b32_e32 v10, 16, v7
	s_wait_dscnt 0x0
	v_lshrrev_b32_e32 v11, 16, v8
	v_add_f16_e32 v12, v7, v8
	v_sub_f16_e32 v7, v7, v8
	s_delay_alu instid0(VALU_DEP_3) | instskip(SKIP_3) | instid1(VALU_DEP_1)
	v_add_f16_e32 v8, v11, v10
	v_sub_f16_e32 v10, v10, v11
	s_wait_loadcnt 0x0
	v_lshrrev_b32_e32 v13, 16, v4
	v_fma_f16 v11, v7, v13, v12
	s_delay_alu instid0(VALU_DEP_3) | instskip(SKIP_2) | instid1(VALU_DEP_4)
	v_fma_f16 v14, v8, v13, v10
	v_fma_f16 v12, -v7, v13, v12
	v_fma_f16 v10, v8, v13, -v10
	v_fma_f16 v11, -v4, v8, v11
	s_delay_alu instid0(VALU_DEP_4) | instskip(NEXT) | instid1(VALU_DEP_4)
	v_fmac_f16_e32 v14, v7, v4
	v_fmac_f16_e32 v12, v4, v8
	s_delay_alu instid0(VALU_DEP_4) | instskip(NEXT) | instid1(VALU_DEP_3)
	v_fmac_f16_e32 v10, v7, v4
	v_pack_b32_f16 v4, v11, v14
	s_delay_alu instid0(VALU_DEP_2)
	v_pack_b32_f16 v7, v12, v10
	ds_store_b32 v0, v4 offset:3640
	ds_store_b32 v9, v7 offset:4368
.LBB0_21:
	s_wait_alu 0xfffe
	s_or_b32 exec_lo, exec_lo, s1
	v_add_nc_u32_e32 v4, 0xf00, v0
	global_wb scope:SCOPE_SE
	s_wait_dscnt 0x0
	s_barrier_signal -1
	s_barrier_wait -1
	global_inv scope:SCOPE_SE
	global_wb scope:SCOPE_SE
	s_barrier_signal -1
	s_barrier_wait -1
	global_inv scope:SCOPE_SE
	ds_load_2addr_b32 v[12:13], v0 offset1:182
	ds_load_2addr_b32 v[8:9], v4 offset0:41 offset1:223
	v_add_nc_u32_e32 v4, 0xb00, v0
	v_add_nc_u32_e32 v14, 0x500, v0
	v_add_nc_u32_e32 v7, 0x1a00, v0
	v_add_nc_u32_e32 v15, 0x1500, v0
	ds_load_2addr_b32 v[19:20], v4 offset0:24 offset1:206
	ds_load_2addr_b32 v[10:11], v7 offset0:65 offset1:247
	;; [unrolled: 1-line block ×4, first 2 shown]
	v_lshl_add_u32 v7, v3, 3, 0
	v_add_nc_u32_e32 v4, 0xb6, v3
	v_lshl_add_u32 v23, v3, 2, v0
	global_wb scope:SCOPE_SE
	s_wait_dscnt 0x0
	s_barrier_signal -1
	v_add_nc_u32_e32 v25, 0xb60, v7
	v_add_nc_u32_e32 v26, 0x1110, v7
	;; [unrolled: 1-line block ×3, first 2 shown]
	v_lshl_add_u32 v24, v4, 3, 0
	s_barrier_wait -1
	v_lshrrev_b32_e32 v16, 16, v12
	v_pk_add_f16 v8, v12, v8 neg_lo:[0,1] neg_hi:[0,1]
	v_pk_add_f16 v18, v13, v9 neg_lo:[0,1] neg_hi:[0,1]
	global_inv scope:SCOPE_SE
	v_lshrrev_b32_e32 v31, 16, v8
	v_fma_f16 v17, v12, 2.0, -v8
	v_pk_add_f16 v12, v19, v10 neg_lo:[0,1] neg_hi:[0,1]
	v_pk_add_f16 v10, v20, v11 neg_lo:[0,1] neg_hi:[0,1]
	s_delay_alu instid0(VALU_DEP_4) | instskip(NEXT) | instid1(VALU_DEP_4)
	v_fma_f16 v16, v16, 2.0, -v31
	v_and_b32_e32 v7, 0xffff, v17
	s_delay_alu instid0(VALU_DEP_4) | instskip(NEXT) | instid1(VALU_DEP_4)
	v_pk_fma_f16 v11, v19, 2.0, v12 op_sel_hi:[1,0,1] neg_lo:[0,0,1] neg_hi:[0,0,1]
	v_pk_fma_f16 v9, v20, 2.0, v10 op_sel_hi:[1,0,1] neg_lo:[0,0,1] neg_hi:[0,0,1]
	s_delay_alu instid0(VALU_DEP_4) | instskip(SKIP_2) | instid1(VALU_DEP_3)
	v_lshlrev_b32_e32 v17, 16, v16
	v_pk_add_f16 v16, v21, v14 neg_lo:[0,1] neg_hi:[0,1]
	v_pk_add_f16 v14, v22, v15 neg_lo:[0,1] neg_hi:[0,1]
	v_or_b32_e32 v7, v17, v7
	v_pk_fma_f16 v17, v13, 2.0, v18 op_sel_hi:[1,0,1] neg_lo:[0,0,1] neg_hi:[0,0,1]
	s_delay_alu instid0(VALU_DEP_4) | instskip(NEXT) | instid1(VALU_DEP_4)
	v_pk_fma_f16 v15, v21, 2.0, v16 op_sel_hi:[1,0,1] neg_lo:[0,0,1] neg_hi:[0,0,1]
	v_pk_fma_f16 v13, v22, 2.0, v14 op_sel_hi:[1,0,1] neg_lo:[0,0,1] neg_hi:[0,0,1]
	ds_store_2addr_b32 v23, v7, v8 offset1:1
	ds_store_2addr_b32 v24, v17, v18 offset1:1
	;; [unrolled: 1-line block ×5, first 2 shown]
	s_and_saveexec_b32 s1, s0
	s_cbranch_execz .LBB0_23
; %bb.22:
	v_lshlrev_b32_e32 v19, 3, v3
	s_delay_alu instid0(VALU_DEP_1)
	v_add3_u32 v19, v19, 0, 0x1c70
	ds_store_2addr_b32 v19, v9, v10 offset1:1
.LBB0_23:
	s_wait_alu 0xfffe
	s_or_b32 exec_lo, exec_lo, s1
	v_cmp_gt_u32_e64 s0, 0x9a, v3
	v_lshrrev_b32_e32 v36, 16, v17
	v_lshrrev_b32_e32 v37, 16, v18
	;; [unrolled: 1-line block ×6, first 2 shown]
	global_wb scope:SCOPE_SE
	s_wait_dscnt 0x0
	s_barrier_signal -1
	s_barrier_wait -1
	global_inv scope:SCOPE_SE
                                        ; implicit-def: $vgpr35
                                        ; implicit-def: $vgpr33
	s_and_saveexec_b32 s1, s0
	s_cbranch_execz .LBB0_25
; %bb.24:
	v_add_nc_u32_e32 v9, 0x400, v0
	v_add_nc_u32_e32 v11, 0xe00, v0
	;; [unrolled: 1-line block ×3, first 2 shown]
	ds_load_2addr_b32 v[7:8], v0 offset1:154
	ds_load_b32 v33, v0 offset:7392
	ds_load_2addr_b32 v[17:18], v9 offset0:52 offset1:206
	ds_load_2addr_b32 v[15:16], v10 offset0:40 offset1:194
	v_add_nc_u32_e32 v9, 0x1200, v0
	ds_load_2addr_b32 v[13:14], v11 offset0:28 offset1:182
	v_add_nc_u32_e32 v10, 0x1800, v0
	ds_load_2addr_b32 v[11:12], v9 offset0:80 offset1:234
	ds_load_2addr_b32 v[9:10], v10 offset0:4 offset1:158
	s_wait_dscnt 0x6
	v_lshrrev_b32_e32 v31, 16, v8
	s_wait_dscnt 0x5
	v_lshrrev_b32_e32 v35, 16, v33
	;; [unrolled: 2-line block ×3, first 2 shown]
	v_lshrrev_b32_e32 v37, 16, v18
	s_wait_dscnt 0x3
	v_lshrrev_b32_e32 v38, 16, v15
	v_lshrrev_b32_e32 v39, 16, v16
	s_wait_dscnt 0x2
	v_lshrrev_b32_e32 v40, 16, v13
	v_lshrrev_b32_e32 v46, 16, v14
.LBB0_25:
	s_wait_alu 0xfffe
	s_or_b32 exec_lo, exec_lo, s1
	v_and_b32_e32 v19, 1, v3
	s_wait_dscnt 0x0
	v_lshrrev_b32_e32 v61, 16, v9
	v_lshrrev_b32_e32 v62, 16, v10
	;; [unrolled: 1-line block ×4, first 2 shown]
	v_mul_u32_u24_e32 v20, 12, v19
	v_lshrrev_b32_e32 v22, 16, v7
	s_delay_alu instid0(VALU_DEP_2)
	v_lshlrev_b32_e32 v20, 2, v20
	s_clause 0x2
	global_load_b128 v[47:50], v20, s[8:9]
	global_load_b128 v[51:54], v20, s[8:9] offset:16
	global_load_b128 v[55:58], v20, s[8:9] offset:32
	global_wb scope:SCOPE_SE
	s_wait_loadcnt 0x0
	s_barrier_signal -1
	s_barrier_wait -1
	global_inv scope:SCOPE_SE
	v_lshrrev_b32_e32 v20, 16, v47
	v_lshrrev_b32_e32 v25, 16, v51
	;; [unrolled: 1-line block ×12, first 2 shown]
	v_mul_f16_e32 v34, v31, v20
	v_mul_f16_e32 v64, v8, v20
	;; [unrolled: 1-line block ×19, first 2 shown]
	v_fma_f16 v45, v31, v47, -v64
	v_fmac_f16_e32 v28, v16, v51
	v_fma_f16 v16, v35, v58, -v63
	v_mul_f16_e32 v29, v38, v24
	v_mul_f16_e32 v27, v40, v26
	;; [unrolled: 1-line block ×5, first 2 shown]
	v_fmac_f16_e32 v34, v8, v47
	v_fma_f16 v44, v36, v48, -v65
	v_fma_f16 v43, v37, v49, -v66
	;; [unrolled: 1-line block ×8, first 2 shown]
	v_fmac_f16_e32 v23, v9, v56
	v_fmac_f16_e32 v20, v33, v58
	v_fma_f16 v36, v61, v56, -v73
	v_fma_f16 v33, v62, v57, -v74
	v_add_f16_e32 v8, v45, v16
	v_sub_f16_e32 v9, v45, v16
	v_fmac_f16_e32 v32, v17, v48
	v_fmac_f16_e32 v30, v18, v49
	;; [unrolled: 1-line block ×8, first 2 shown]
	v_add_f16_e32 v53, v34, v20
	v_sub_f16_e32 v52, v34, v20
	v_add_f16_e32 v10, v44, v33
	v_sub_f16_e32 v11, v44, v33
	;; [unrolled: 2-line block ×4, first 2 shown]
	v_sub_f16_e32 v17, v41, v38
	v_add_f16_e32 v18, v41, v38
	v_sub_f16_e32 v31, v40, v39
	v_add_f16_e32 v35, v40, v39
	v_mul_f16_e32 v54, 0xb770, v9
	v_mul_f16_e32 v57, 0x3b15, v8
	v_mul_f16_e32 v70, 0xba95, v9
	v_mul_f16_e32 v73, 0x388b, v8
	v_mul_f16_e32 v80, 0xbbf1, v9
	v_mul_f16_e32 v86, 0x2fb7, v8
	v_mul_f16_e32 v95, 0xbb7b, v9
	v_mul_f16_e32 v103, 0xb5ac, v8
	v_mul_f16_e32 v109, 0xb94e, v9
	v_mul_f16_e32 v113, 0xb9fd, v8
	v_mul_f16_e32 v121, 0xb3a8, v9
	v_mul_f16_e32 v127, 0xbbc4, v8
	v_add_f16_e32 v46, v32, v21
	v_sub_f16_e32 v47, v32, v21
	v_mul_f16_e32 v55, 0xba95, v11
	v_mul_f16_e32 v59, 0x388b, v10
	;; [unrolled: 1-line block ×11, first 2 shown]
	v_mul_f16_e64 v128, 0x3b15, v10
	v_mul_f16_e32 v56, 0xbbf1, v13
	v_mul_f16_e32 v60, 0x2fb7, v12
	v_mul_f16_e32 v67, 0xb3a8, v13
	v_mul_f16_e32 v77, 0xbbc4, v12
	v_mul_f16_e32 v81, 0x3b7b, v13
	v_mul_f16_e32 v89, 0xb5ac, v12
	v_mul_f16_e32 v96, 0x3770, v13
	v_mul_f16_e32 v105, 0x3b15, v12
	v_mul_f16_e32 v110, 0xba95, v13
	v_mul_f16_e32 v116, 0x388b, v12
	v_mul_f16_e32 v118, 0xb94e, v13
	v_mul_f16_e32 v125, 0xb9fd, v12
	v_mul_f16_e32 v58, 0xbb7b, v15
	v_mul_f16_e32 v63, 0xb5ac, v14
	v_mul_f16_e32 v68, 0x394e, v15
	v_mul_f16_e32 v76, 0xb9fd, v14
	v_mul_f16_e32 v83, 0x3770, v15
	v_mul_f16_e32 v92, 0x3b15, v14
	v_mul_f16_e32 v94, 0xbbf1, v15
	v_mul_f16_e32 v101, 0x2fb7, v14
	v_mul_f16_e32 v108, 0x33a8, v15
	v_mul_f16_e32 v114, 0xbbc4, v14
	v_mul_f16_e32 v120, 0x3a95, v15
	v_mul_f16_e32 v126, 0x388b, v14
	v_mul_f16_e32 v61, 0xb94e, v17
	v_mul_f16_e32 v65, 0xb9fd, v18
	v_mul_f16_e32 v69, 0x3bf1, v17
	v_mul_f16_e32 v79, 0x2fb7, v18
	v_mul_f16_e32 v84, 0xba95, v17
	v_mul_f16_e32 v91, 0x388b, v18
	v_mul_f16_e32 v97, 0x33a8, v17
	v_mul_f16_e32 v100, 0xbbc4, v18
	v_mul_f16_e32 v107, 0x3770, v17
	v_mul_f16_e32 v112, 0x3b15, v18
	v_mul_f16_e32 v119, 0xbb7b, v17
	v_mul_f16_e32 v124, 0xb5ac, v18
	v_mul_f16_e32 v62, 0xb3a8, v31
	v_mul_f16_e32 v64, 0xbbc4, v35
	v_mul_f16_e32 v66, 0x3770, v31
	v_mul_f16_e32 v71, 0x3b15, v35
	v_mul_f16_e32 v87, 0xb94e, v31
	v_mul_f16_e32 v93, 0xb9fd, v35
	v_mul_f16_e32 v99, 0x3a95, v31
	v_mul_f16_e32 v102, 0x388b, v35
	v_mul_f16_e32 v104, 0xbb7b, v31
	v_mul_f16_e32 v117, 0xb5ac, v35
	v_mul_f16_e32 v123, 0x3bf1, v31
	v_mul_f16_e64 v129, 0x2fb7, v35
	v_fma_f16 v8, v53, 0x3b15, -v54
	v_fmamk_f16 v9, v52, 0xb770, v57
	v_fma_f16 v10, v53, 0x388b, -v70
	v_fmamk_f16 v11, v52, 0xba95, v73
	;; [unrolled: 2-line block ×6, first 2 shown]
	v_add_f16_e32 v48, v30, v23
	v_sub_f16_e32 v49, v30, v23
	v_fma_f16 v130, v46, 0x388b, -v55
	v_fma_f16 v131, 0xba95, v47, v59
	v_fma_f16 v132, v46, 0xb5ac, -v72
	v_fma_f16 v133, 0xbb7b, v47, v74
	v_fma_f16 v134, v46, 0xbbc4, -v82
	v_fma_f16 v135, 0xb3a8, v47, v90
	v_fma_f16 v136, v46, 0xb9fd, -v98
	v_fma_f16 v137, 0x394e, v47, v106
	v_fma_f16 v138, v46, 0x2fb7, -v111
	v_fma_f16 v139, 0x3bf1, v47, v115
	v_fma_f16 v140, v46, 0x3b15, -v122
	v_fma_f16 v141, 0x3770, v47, v128
	v_add_f16_e32 v8, v8, v7
	v_add_f16_e32 v9, v9, v22
	;; [unrolled: 1-line block ×13, first 2 shown]
	v_sub_f16_e32 v51, v29, v24
	v_fma_f16 v142, v48, 0x2fb7, -v56
	v_fma_f16 v143, 0xbbf1, v49, v60
	v_add_f16_e64 v8, v130, v8
	v_fma_f16 v130, v48, 0xbbc4, -v67
	v_add_f16_e64 v9, v131, v9
	v_fma_f16 v131, 0xb3a8, v49, v77
	v_add_f16_e64 v10, v132, v10
	v_fma_f16 v132, v48, 0xb5ac, -v81
	v_add_f16_e64 v11, v133, v11
	v_fma_f16 v133, 0x3b7b, v49, v89
	v_add_f16_e64 v12, v134, v12
	v_fma_f16 v134, v48, 0x3b15, -v96
	v_add_f16_e64 v13, v135, v13
	v_fma_f16 v135, 0x3770, v49, v105
	v_add_f16_e64 v14, v136, v14
	v_fma_f16 v136, v48, 0x388b, -v110
	v_add_f16_e64 v15, v137, v15
	v_fma_f16 v137, 0xba95, v49, v116
	v_add_f16_e64 v17, v138, v17
	v_fma_f16 v138, v48, 0xb9fd, -v118
	v_add_f16_e64 v18, v139, v18
	v_fma_f16 v139, 0xb94e, v49, v125
	v_add_f16_e64 v31, v140, v31
	v_add_f16_e64 v35, v141, v35
	v_add_f16_e32 v75, v28, v25
	v_sub_f16_e32 v78, v28, v25
	v_fma_f16 v140, v50, 0xb5ac, -v58
	v_fma_f16 v141, 0xbb7b, v51, v63
	v_add_f16_e64 v8, v142, v8
	v_fma_f16 v142, v50, 0xb9fd, -v68
	v_add_f16_e64 v9, v143, v9
	v_fma_f16 v143, 0x394e, v51, v76
	v_add_f16_e64 v10, v130, v10
	v_fma_f16 v130, v50, 0x3b15, -v83
	v_add_f16_e64 v11, v131, v11
	;; [unrolled: 4-line block ×5, first 2 shown]
	v_fma_f16 v137, 0x3a95, v51, v126
	v_add_f16_e64 v31, v138, v31
	v_add_f16_e64 v35, v139, v35
	v_add_f16_e32 v85, v27, v26
	v_sub_f16_e32 v88, v27, v26
	v_fma_f16 v138, v75, 0xb9fd, -v61
	v_fma_f16 v139, 0xb94e, v78, v65
	v_add_f16_e64 v8, v140, v8
	v_fma_f16 v140, v75, 0x2fb7, -v69
	v_add_f16_e64 v9, v141, v9
	v_fma_f16 v141, 0x3bf1, v78, v79
	v_add_f16_e64 v10, v142, v10
	v_fma_f16 v142, v75, 0x388b, -v84
	v_add_f16_e64 v11, v143, v11
	;; [unrolled: 4-line block ×5, first 2 shown]
	v_fma_f16 v135, 0xbb7b, v78, v124
	v_add_f16_e64 v31, v136, v31
	v_add_f16_e64 v35, v137, v35
	v_fma_f16 v136, v85, 0xbbc4, -v62
	v_fma_f16 v137, 0xb3a8, v88, v64
	v_add_f16_e64 v8, v138, v8
	v_fma_f16 v138, v85, 0x3b15, -v66
	v_add_f16_e64 v9, v139, v9
	v_fma_f16 v139, 0x3770, v88, v71
	v_add_f16_e64 v10, v140, v10
	v_fma_f16 v140, v85, 0xb9fd, -v87
	v_add_f16_e64 v141, v141, v11
	;; [unrolled: 4-line block ×5, first 2 shown]
	v_fma_f16 v149, 0x3bf1, v88, v129
	v_add_f16_e64 v134, v134, v31
	v_add_f16_e64 v135, v135, v35
	;; [unrolled: 1-line block ×14, first 2 shown]
	s_and_saveexec_b32 s1, s0
	s_cbranch_execz .LBB0_27
; %bb.26:
	v_mul_f16_e64 v130, 0xb3a8, v52
	v_mul_f16_e64 v133, 0x3770, v47
	;; [unrolled: 1-line block ×5, first 2 shown]
	v_sub_f16_e64 v127, v127, v130
	v_sub_f16_e64 v128, v128, v133
	v_mul_f16_e64 v133, 0x3a95, v51
	v_sub_f16_e64 v125, v125, v135
	v_sub_f16_e64 v124, v124, v137
	v_add_f16_e32 v127, v127, v22
	v_mul_f16_e64 v130, 0xba95, v52
	v_sub_f16_e64 v126, v126, v133
	v_mul_f16_e64 v133, 0x3b15, v46
	v_mul_f16_e64 v138, 0xbbf1, v52
	v_add_f16_e64 v127, v128, v127
	v_mul_f16_e64 v128, 0xbbc4, v53
	v_mul_f16_e64 v139, 0xbb7b, v52
	v_mul_f16_e32 v52, 0xb94e, v52
	v_add_f16_e64 v122, v133, v122
	v_add_f16_e32 v125, v125, v127
	v_mul_f16_e32 v127, 0x3bf1, v88
	v_add_f16_e64 v121, v128, v121
	v_sub_f16_e32 v52, v113, v52
	v_mul_f16_e64 v131, 0x3b15, v53
	v_add_f16_e32 v125, v126, v125
	v_sub_f16_e64 v127, v129, v127
	v_add_f16_e32 v121, v121, v7
	v_add_f16_e32 v52, v52, v22
	v_mul_f16_e64 v134, 0x388b, v53
	v_add_f16_e32 v124, v124, v125
	v_mul_f16_e64 v136, 0x2fb7, v53
	v_add_f16_e32 v121, v122, v121
	v_mul_f16_e32 v122, 0x3bf1, v47
	v_mul_f16_e64 v135, 0xb5ac, v53
	v_add_f16_e32 v124, v127, v124
	v_mul_f16_e32 v127, 0xb9fd, v48
	v_mul_f16_e32 v53, 0xb9fd, v53
	v_sub_f16_e32 v115, v115, v122
	v_mul_f16_e32 v126, 0x388b, v46
	v_mul_f16_e64 v128, 0xb5ac, v46
	v_add_f16_e32 v118, v127, v118
	v_mul_f16_e32 v127, 0x388b, v50
	v_add_f16_e32 v52, v115, v52
	v_mul_f16_e32 v122, 0xbbc4, v46
	v_mul_f16_e32 v115, 0xb9fd, v46
	v_add_f16_e32 v118, v118, v121
	v_mul_f16_e32 v121, 0xba95, v49
	v_add_f16_e32 v120, v127, v120
	;; [unrolled: 2-line block ×3, first 2 shown]
	v_mul_f16_e32 v125, 0xba95, v47
	v_sub_f16_e32 v116, v116, v121
	v_mul_f16_e32 v121, 0xb5ac, v75
	v_add_f16_e32 v118, v120, v118
	v_mul_f16_e32 v120, 0x33a8, v51
	v_mul_f16_e32 v113, 0xbb7b, v47
	v_add_f16_e32 v52, v116, v52
	v_add_f16_e32 v119, v121, v119
	v_mul_f16_e32 v116, 0x2fb7, v85
	v_mul_f16_e32 v127, 0xb3a8, v47
	;; [unrolled: 1-line block ×4, first 2 shown]
	v_sub_f16_e32 v114, v114, v120
	v_add_f16_e32 v118, v119, v118
	v_mul_f16_e32 v119, 0xbbc4, v48
	v_add_f16_e32 v116, v116, v123
	v_mul_f16_e32 v123, 0x3770, v78
	v_mul_f16_e32 v109, 0xb5ac, v48
	v_add_f16_e32 v46, v46, v111
	v_mul_f16_e32 v111, 0x3b15, v48
	v_add_f16_e32 v53, v53, v7
	v_mul_f16_e32 v48, 0x388b, v48
	v_sub_f16_e64 v103, v103, v139
	v_sub_f16_e64 v73, v73, v130
	v_mul_f16_e32 v120, 0xbbf1, v49
	v_add_f16_e32 v52, v114, v52
	v_mul_f16_e32 v114, 0xb3a8, v49
	v_sub_f16_e32 v112, v112, v123
	v_mul_f16_e32 v123, 0x3b7b, v49
	v_mul_f16_e32 v49, 0x3770, v49
	v_add_f16_e32 v46, v46, v53
	v_add_f16_e32 v48, v48, v110
	v_sub_f16_e32 v47, v106, v47
	v_add_f16_e32 v103, v103, v22
	v_add_f16_e32 v73, v73, v22
	v_sub_f16_e32 v74, v74, v113
	v_add_f16_e32 v46, v48, v46
	v_mul_f16_e32 v48, 0x394e, v51
	v_add_f16_e32 v47, v47, v103
	v_sub_f16_e32 v49, v105, v49
	v_add_f16_e64 v95, v135, v95
	v_add_f16_e32 v73, v74, v73
	v_sub_f16_e32 v74, v77, v114
	v_mul_f16_e64 v129, 0xbbc4, v50
	v_add_f16_e32 v47, v49, v47
	v_mul_f16_e32 v49, 0x3bf1, v78
	v_add_f16_e32 v98, v115, v98
	v_add_f16_e32 v95, v95, v7
	v_add_f16_e32 v73, v74, v73
	v_sub_f16_e32 v48, v76, v48
	v_add_f16_e32 v45, v45, v22
	v_add_f16_e32 v34, v34, v7
	v_mul_f16_e32 v110, 0xbb7b, v51
	v_add_f16_e64 v108, v129, v108
	v_mul_f16_e64 v129, 0x3770, v51
	v_mul_f16_e32 v51, 0xbbf1, v51
	v_add_f16_e32 v95, v98, v95
	v_mul_f16_e32 v98, 0x3770, v88
	v_add_f16_e64 v70, v134, v70
	v_add_f16_e32 v48, v48, v73
	v_sub_f16_e32 v49, v79, v49
	v_add_f16_e32 v44, v45, v44
	v_add_f16_e32 v32, v34, v32
	v_add_f16_e32 v52, v112, v52
	v_mul_f16_e32 v112, 0xbb7b, v88
	v_add_f16_e32 v46, v108, v46
	v_mul_f16_e32 v108, 0xb94e, v78
	v_mul_f16_e32 v115, 0xba95, v78
	;; [unrolled: 1-line block ×3, first 2 shown]
	v_sub_f16_e32 v51, v101, v51
	v_add_f16_e32 v70, v70, v7
	v_add_f16_e64 v72, v128, v72
	v_add_f16_e32 v48, v49, v48
	v_sub_f16_e32 v34, v71, v98
	v_add_f16_e32 v43, v44, v43
	v_add_f16_e32 v30, v32, v30
	v_sub_f16_e32 v112, v117, v112
	v_mul_f16_e32 v117, 0xb9fd, v50
	v_mul_f16_e32 v103, 0x3b15, v75
	v_add_f16_e32 v47, v51, v47
	v_sub_f16_e32 v78, v100, v78
	v_sub_f16_e64 v86, v86, v138
	v_add_f16_e32 v70, v72, v70
	v_add_f16_e32 v67, v119, v67
	;; [unrolled: 1-line block ×3, first 2 shown]
	v_sub_f16_e64 v34, v57, v132
	v_add_f16_e32 v42, v43, v42
	v_add_f16_e32 v29, v30, v29
	v_mul_f16_e32 v53, 0xb5ac, v50
	v_mul_f16_e32 v106, 0x3b15, v50
	;; [unrolled: 1-line block ×3, first 2 shown]
	v_add_f16_e32 v103, v103, v107
	v_mul_f16_e32 v107, 0x2fb7, v75
	v_add_f16_e32 v96, v111, v96
	v_add_f16_e32 v47, v78, v47
	;; [unrolled: 1-line block ×6, first 2 shown]
	v_sub_f16_e32 v34, v59, v125
	v_add_f16_e32 v41, v42, v41
	v_add_f16_e32 v28, v29, v28
	v_mul_f16_e32 v105, 0xb9fd, v75
	v_mul_f16_e64 v133, 0x388b, v75
	v_mul_f16_e32 v75, 0xbbc4, v75
	v_add_f16_e32 v95, v96, v95
	v_add_f16_e32 v50, v50, v94
	;; [unrolled: 1-line block ×9, first 2 shown]
	v_add_f16_e64 v80, v136, v80
	v_add_f16_e32 v29, v30, v44
	v_add_f16_e64 v30, v131, v54
	v_sub_f16_e32 v28, v60, v120
	v_add_f16_e32 v34, v34, v39
	v_add_f16_e32 v26, v27, v26
	v_sub_f16_e32 v86, v90, v127
	v_add_f16_e32 v50, v75, v50
	v_add_f16_e32 v75, v80, v7
	;; [unrolled: 1-line block ×9, first 2 shown]
	v_sub_f16_e32 v86, v89, v123
	v_add_f16_e32 v75, v80, v75
	v_add_f16_e32 v80, v109, v81
	;; [unrolled: 1-line block ×7, first 2 shown]
	v_sub_f16_e64 v82, v92, v129
	v_add_f16_e32 v75, v80, v75
	v_add_f16_e32 v80, v106, v83
	v_sub_f16_e32 v27, v63, v110
	v_add_f16_e32 v7, v26, v7
	v_add_f16_e32 v25, v53, v58
	;; [unrolled: 1-line block ×4, first 2 shown]
	v_mul_f16_e32 v101, 0xbbc4, v85
	v_add_f16_e32 v52, v112, v52
	v_mul_f16_e32 v112, 0xb3a8, v88
	v_add_f16_e32 v46, v103, v46
	v_mul_f16_e32 v103, 0x3b15, v85
	v_mul_f16_e32 v111, 0xb9fd, v85
	v_mul_f16_e32 v100, 0xb94e, v88
	v_add_f16_e32 v78, v82, v78
	v_sub_f16_e32 v81, v91, v115
	v_add_f16_e32 v75, v80, v75
	v_add_f16_e64 v77, v133, v84
	v_add_f16_e32 v22, v27, v22
	v_sub_f16_e32 v27, v65, v108
	v_add_f16_e32 v7, v25, v7
	v_add_f16_e32 v24, v105, v61
	;; [unrolled: 1-line block ×4, first 2 shown]
	v_lshrrev_b32_e32 v23, 1, v3
	v_mul_f16_e32 v51, 0xb5ac, v85
	v_mul_f16_e32 v85, 0x388b, v85
	;; [unrolled: 1-line block ×3, first 2 shown]
	v_add_f16_e32 v78, v81, v78
	v_sub_f16_e32 v81, v93, v100
	v_add_f16_e32 v74, v77, v75
	v_add_f16_e32 v75, v111, v87
	;; [unrolled: 1-line block ×4, first 2 shown]
	v_sub_f16_e32 v27, v64, v112
	v_add_f16_e32 v7, v24, v7
	v_add_f16_e32 v16, v25, v16
	;; [unrolled: 1-line block ×3, first 2 shown]
	v_mul_u32_u24_e32 v21, 26, v23
	v_add_f16_e32 v23, v101, v62
	v_add_f16_e32 v51, v51, v104
	v_sub_f16_e32 v88, v102, v88
	v_add_f16_e32 v85, v85, v99
	v_add_f16_e32 v78, v81, v78
	;; [unrolled: 1-line block ×3, first 2 shown]
	v_lshlrev_b32_e32 v16, 16, v16
	v_and_b32_e32 v20, 0xffff, v20
	v_or_b32_e32 v19, v21, v19
	v_add_f16_e32 v7, v23, v7
	v_add_f16_e32 v21, v26, v29
	v_add_f16_e32 v23, v75, v74
	v_add_f16_e32 v47, v88, v47
	v_or_b32_e32 v16, v16, v20
	v_lshl_add_u32 v19, v19, 2, 0
	v_pack_b32_f16 v7, v7, v22
	v_pack_b32_f16 v20, v21, v32
	;; [unrolled: 1-line block ×3, first 2 shown]
	v_add_f16_e32 v22, v85, v50
	v_add_f16_e32 v23, v51, v46
	;; [unrolled: 1-line block ×3, first 2 shown]
	ds_store_2addr_b32 v19, v16, v7 offset1:2
	ds_store_2addr_b32 v19, v20, v21 offset0:4 offset1:6
	v_perm_b32 v21, v9, v8, 0x5040100
	v_pack_b32_f16 v7, v22, v47
	v_pack_b32_f16 v16, v23, v52
	;; [unrolled: 1-line block ×3, first 2 shown]
	v_perm_b32 v22, v35, v31, 0x5040100
	v_perm_b32 v23, v13, v18, 0x5040100
	;; [unrolled: 1-line block ×5, first 2 shown]
	ds_store_2addr_b32 v19, v7, v16 offset0:8 offset1:10
	ds_store_2addr_b32 v19, v20, v21 offset0:12 offset1:14
	;; [unrolled: 1-line block ×4, first 2 shown]
	ds_store_b32 v19, v26 offset:96
.LBB0_27:
	s_wait_alu 0xfffe
	s_or_b32 exec_lo, exec_lo, s1
	global_wb scope:SCOPE_SE
	s_wait_dscnt 0x0
	s_barrier_signal -1
	s_barrier_wait -1
	global_inv scope:SCOPE_SE
	ds_load_b32 v19, v0
	ds_load_b32 v25, v0 offset:1144
	ds_load_b32 v24, v0 offset:2288
	;; [unrolled: 1-line block ×6, first 2 shown]
	v_cmp_gt_u32_e64 s0, 0x68, v3
                                        ; implicit-def: $vgpr16
                                        ; implicit-def: $vgpr7
	s_delay_alu instid0(VALU_DEP_1)
	s_and_saveexec_b32 s1, s0
	s_cbranch_execz .LBB0_29
; %bb.28:
	ds_load_b32 v8, v0 offset:728
	ds_load_b32 v10, v0 offset:4160
	;; [unrolled: 1-line block ×6, first 2 shown]
	ds_load_u16 v13, v0 offset:3018
	ds_load_b32 v18, v0 offset:3016
	s_wait_dscnt 0x7
	v_lshrrev_b32_e32 v9, 16, v8
	s_wait_dscnt 0x6
	v_lshrrev_b32_e32 v17, 16, v10
	;; [unrolled: 2-line block ×6, first 2 shown]
.LBB0_29:
	s_wait_alu 0xfffe
	s_or_b32 exec_lo, exec_lo, s1
	v_and_b32_e32 v26, 0xff, v3
	s_wait_dscnt 0x5
	v_lshrrev_b32_e32 v36, 16, v25
	s_wait_dscnt 0x4
	v_lshrrev_b32_e32 v37, 16, v24
	;; [unrolled: 2-line block ×4, first 2 shown]
	v_mul_lo_u16 v26, 0x4f, v26
	s_wait_dscnt 0x0
	v_lshrrev_b32_e32 v41, 16, v23
	v_lshrrev_b32_e32 v38, 16, v22
	;; [unrolled: 1-line block ×3, first 2 shown]
	v_lshrrev_b16 v30, 11, v26
	s_delay_alu instid0(VALU_DEP_1) | instskip(SKIP_1) | instid1(VALU_DEP_2)
	v_mul_lo_u16 v26, v30, 26
	v_and_b32_e32 v30, 0xffff, v30
	v_sub_nc_u16 v26, v3, v26
	s_delay_alu instid0(VALU_DEP_2) | instskip(NEXT) | instid1(VALU_DEP_2)
	v_mul_u32_u24_e32 v30, 0x2d8, v30
	v_and_b32_e32 v34, 0xff, v26
	s_delay_alu instid0(VALU_DEP_1) | instskip(SKIP_1) | instid1(VALU_DEP_2)
	v_mul_u32_u24_e32 v26, 6, v34
	v_lshlrev_b32_e32 v34, 2, v34
	v_lshlrev_b32_e32 v32, 2, v26
	s_delay_alu instid0(VALU_DEP_2)
	v_add3_u32 v30, 0, v30, v34
	s_clause 0x1
	global_load_b128 v[26:29], v32, s[8:9] offset:96
	global_load_b64 v[32:33], v32, s[8:9] offset:112
	global_wb scope:SCOPE_SE
	s_wait_loadcnt 0x0
	s_barrier_signal -1
	s_barrier_wait -1
	global_inv scope:SCOPE_SE
	v_lshrrev_b32_e32 v34, 16, v26
	v_lshrrev_b32_e32 v43, 16, v27
	v_lshrrev_b32_e32 v45, 16, v29
	v_lshrrev_b32_e32 v46, 16, v32
	v_lshrrev_b32_e32 v47, 16, v33
	v_lshrrev_b32_e32 v44, 16, v28
	v_mul_f16_e32 v48, v34, v36
	v_mul_f16_e32 v34, v34, v25
	;; [unrolled: 1-line block ×12, first 2 shown]
	v_fmac_f16_e32 v48, v26, v25
	v_fma_f16 v25, v26, v36, -v34
	v_fmac_f16_e32 v49, v27, v24
	v_fma_f16 v24, v27, v37, -v43
	v_fmac_f16_e32 v51, v29, v21
	v_fmac_f16_e32 v53, v33, v23
	v_fma_f16 v21, v33, v41, -v47
	v_fmac_f16_e32 v52, v32, v20
	v_fma_f16 v20, v32, v40, -v46
	v_fmac_f16_e32 v50, v28, v22
	v_fma_f16 v22, v28, v38, -v44
	v_fma_f16 v23, v29, v39, -v45
	v_add_f16_e32 v26, v48, v53
	v_add_f16_e32 v27, v25, v21
	v_sub_f16_e32 v21, v25, v21
	v_add_f16_e32 v25, v49, v52
	v_add_f16_e32 v29, v24, v20
	v_sub_f16_e32 v32, v49, v52
	v_sub_f16_e32 v20, v24, v20
	v_add_f16_e32 v24, v50, v51
	v_add_f16_e32 v33, v22, v23
	v_sub_f16_e32 v34, v51, v50
	;; [unrolled: 4-line block ×3, first 2 shown]
	v_sub_f16_e32 v37, v25, v26
	v_sub_f16_e32 v38, v29, v27
	;; [unrolled: 1-line block ×6, first 2 shown]
	v_add_f16_e32 v39, v34, v32
	v_add_f16_e32 v40, v22, v20
	v_sub_f16_e32 v41, v34, v32
	v_sub_f16_e32 v43, v22, v20
	v_add_f16_e32 v23, v24, v23
	v_add_f16_e32 v24, v33, v36
	v_sub_f16_e32 v32, v32, v28
	v_sub_f16_e32 v20, v20, v21
	;; [unrolled: 1-line block ×4, first 2 shown]
	v_add_f16_e32 v28, v39, v28
	v_add_f16_e32 v21, v40, v21
	v_mul_f16_e32 v26, 0x3a52, v26
	v_mul_f16_e32 v27, 0x3a52, v27
	;; [unrolled: 1-line block ×6, first 2 shown]
	v_add_f16_e32 v19, v23, v19
	v_add_f16_e32 v42, v24, v42
	v_mul_f16_e32 v41, 0xbb00, v32
	v_mul_f16_e32 v43, 0xbb00, v20
	v_fmamk_f16 v25, v25, 0x2b26, v26
	v_fmamk_f16 v29, v29, 0x2b26, v27
	v_fma_f16 v33, v37, 0x39e0, -v33
	v_fma_f16 v36, v38, 0x39e0, -v36
	;; [unrolled: 1-line block ×4, first 2 shown]
	v_fmamk_f16 v37, v34, 0xb574, v39
	v_fmamk_f16 v38, v22, 0xb574, v40
	v_fma_f16 v32, v32, 0xbb00, -v39
	v_fma_f16 v20, v20, 0xbb00, -v40
	v_lshlrev_b32_e32 v39, 16, v42
	v_and_b32_e32 v40, 0xffff, v19
	v_fmac_f16_e32 v19, 0xbcab, v23
	v_fmac_f16_e32 v42, 0xbcab, v24
	v_fma_f16 v34, v34, 0x3574, -v41
	v_fma_f16 v22, v22, 0x3574, -v43
	v_fmac_f16_e32 v37, 0xb70e, v28
	v_fmac_f16_e32 v38, 0xb70e, v21
	v_add_f16_e32 v23, v25, v19
	v_add_f16_e32 v24, v29, v42
	v_fmac_f16_e32 v32, 0xb70e, v28
	v_fmac_f16_e32 v20, 0xb70e, v21
	;; [unrolled: 1-line block ×4, first 2 shown]
	v_add_f16_e32 v25, v33, v19
	v_add_f16_e32 v19, v26, v19
	;; [unrolled: 1-line block ×5, first 2 shown]
	v_sub_f16_e32 v29, v24, v37
	v_or_b32_e32 v21, v39, v40
	v_add_f16_e32 v33, v22, v19
	v_sub_f16_e32 v36, v26, v34
	v_sub_f16_e32 v39, v25, v20
	v_add_f16_e32 v40, v32, v27
	v_add_f16_e32 v20, v20, v25
	v_sub_f16_e32 v25, v27, v32
	v_sub_f16_e32 v19, v19, v22
	v_add_f16_e32 v22, v34, v26
	v_sub_f16_e32 v23, v23, v38
	v_add_f16_e32 v24, v37, v24
	v_pack_b32_f16 v26, v28, v29
	v_pack_b32_f16 v27, v33, v36
	;; [unrolled: 1-line block ×6, first 2 shown]
	ds_store_2addr_b32 v30, v21, v26 offset1:26
	ds_store_2addr_b32 v30, v27, v28 offset0:52 offset1:78
	ds_store_2addr_b32 v30, v20, v19 offset0:104 offset1:130
	ds_store_b32 v30, v22 offset:624
	s_and_saveexec_b32 s1, s0
	s_cbranch_execz .LBB0_31
; %bb.30:
	v_and_b32_e32 v19, 0xffff, v4
	s_delay_alu instid0(VALU_DEP_1) | instskip(NEXT) | instid1(VALU_DEP_1)
	v_mul_u32_u24_e32 v19, 0x4ec5, v19
	v_lshrrev_b32_e32 v25, 19, v19
	s_delay_alu instid0(VALU_DEP_1) | instskip(SKIP_1) | instid1(VALU_DEP_2)
	v_mul_lo_u16 v19, v25, 26
	v_mul_lo_u16 v25, 0xb6, v25
	v_sub_nc_u16 v4, v4, v19
	s_delay_alu instid0(VALU_DEP_2) | instskip(NEXT) | instid1(VALU_DEP_2)
	v_and_b32_e32 v25, 0xffff, v25
	v_and_b32_e32 v4, 0xffff, v4
	s_delay_alu instid0(VALU_DEP_2) | instskip(NEXT) | instid1(VALU_DEP_2)
	v_lshlrev_b32_e32 v25, 2, v25
	v_mul_u32_u24_e32 v19, 6, v4
	v_lshlrev_b32_e32 v4, 2, v4
	s_delay_alu instid0(VALU_DEP_2) | instskip(NEXT) | instid1(VALU_DEP_2)
	v_lshlrev_b32_e32 v23, 2, v19
	v_add3_u32 v4, 0, v4, v25
	s_clause 0x1
	global_load_b128 v[19:22], v23, s[8:9] offset:96
	global_load_b64 v[23:24], v23, s[8:9] offset:112
	s_wait_loadcnt 0x1
	v_lshrrev_b32_e32 v25, 16, v19
	v_lshrrev_b32_e32 v26, 16, v20
	s_wait_loadcnt 0x0
	v_lshrrev_b32_e32 v27, 16, v24
	v_lshrrev_b32_e32 v29, 16, v21
	;; [unrolled: 1-line block ×4, first 2 shown]
	v_mul_f16_e32 v32, v35, v25
	v_mul_f16_e32 v33, v16, v27
	v_mul_f16_e32 v36, v17, v29
	v_mul_f16_e32 v37, v13, v26
	v_mul_f16_e32 v38, v14, v30
	v_mul_f16_e32 v27, v7, v27
	v_mul_f16_e32 v25, v31, v25
	v_mul_f16_e32 v30, v11, v30
	v_mul_f16_e32 v26, v18, v26
	v_mul_f16_e32 v34, v15, v28
	v_mul_f16_e32 v29, v10, v29
	v_mul_f16_e32 v28, v12, v28
	v_fmac_f16_e32 v32, v31, v19
	v_fmac_f16_e32 v33, v7, v24
	;; [unrolled: 1-line block ×5, first 2 shown]
	v_fma_f16 v7, v16, v24, -v27
	v_fma_f16 v10, v35, v19, -v25
	;; [unrolled: 1-line block ×4, first 2 shown]
	v_fmac_f16_e32 v34, v12, v22
	v_fma_f16 v11, v17, v21, -v29
	v_fma_f16 v12, v15, v22, -v28
	v_add_f16_e32 v18, v10, v7
	v_add_f16_e32 v20, v13, v14
	;; [unrolled: 1-line block ×4, first 2 shown]
	v_sub_f16_e32 v15, v32, v33
	v_sub_f16_e32 v16, v34, v36
	;; [unrolled: 1-line block ×3, first 2 shown]
	v_add_f16_e32 v19, v11, v12
	v_add_f16_e32 v22, v36, v34
	v_sub_f16_e32 v7, v10, v7
	v_sub_f16_e32 v10, v12, v11
	;; [unrolled: 1-line block ×3, first 2 shown]
	v_add_f16_e32 v25, v20, v18
	v_add_f16_e32 v28, v23, v21
	v_sub_f16_e32 v12, v15, v16
	v_sub_f16_e32 v13, v16, v17
	v_add_f16_e32 v14, v16, v17
	v_sub_f16_e32 v16, v18, v19
	v_sub_f16_e32 v24, v19, v20
	;; [unrolled: 1-line block ×6, first 2 shown]
	v_add_f16_e32 v10, v10, v11
	v_sub_f16_e32 v17, v17, v15
	v_sub_f16_e32 v11, v11, v7
	v_add_f16_e32 v19, v19, v25
	v_add_f16_e32 v22, v22, v28
	v_sub_f16_e32 v18, v20, v18
	v_sub_f16_e32 v20, v23, v21
	v_mul_f16_e32 v13, 0x3846, v13
	v_add_f16_e32 v14, v14, v15
	v_mul_f16_e32 v15, 0x3a52, v16
	v_mul_f16_e32 v16, 0x2b26, v24
	;; [unrolled: 1-line block ×4, first 2 shown]
	v_add_f16_e32 v7, v10, v7
	v_mul_f16_e32 v10, 0xbb00, v17
	v_mul_f16_e32 v26, 0xbb00, v11
	v_add_f16_e32 v9, v9, v19
	v_add_f16_e32 v8, v8, v22
	v_mul_f16_e32 v23, 0x2b26, v27
	v_fmamk_f16 v28, v12, 0xb574, v13
	v_fmamk_f16 v24, v24, 0x2b26, v15
	;; [unrolled: 1-line block ×4, first 2 shown]
	v_fma_f16 v10, v12, 0x3574, -v10
	v_fma_f16 v12, v18, 0xb9e0, -v15
	v_fma_f16 v15, v20, 0xb9e0, -v21
	v_fma_f16 v21, v29, 0x3574, -v26
	v_fma_f16 v16, v18, 0x39e0, -v16
	v_fma_f16 v11, v11, 0xbb00, -v25
	v_fmamk_f16 v18, v19, 0xbcab, v9
	v_fmamk_f16 v19, v22, 0xbcab, v8
	v_fma_f16 v13, v17, 0xbb00, -v13
	v_fma_f16 v17, v20, 0x39e0, -v23
	v_fmac_f16_e32 v28, 0xb70e, v14
	v_fmac_f16_e32 v30, 0xb70e, v7
	;; [unrolled: 1-line block ×4, first 2 shown]
	v_pack_b32_f16 v7, v8, v9
	v_add_f16_e32 v8, v24, v18
	v_add_f16_e32 v9, v27, v19
	v_fmac_f16_e32 v10, 0xb70e, v14
	v_fmac_f16_e32 v13, 0xb70e, v14
	v_add_f16_e32 v12, v12, v18
	v_add_f16_e32 v14, v15, v19
	;; [unrolled: 1-line block ×5, first 2 shown]
	v_sub_f16_e32 v18, v9, v30
	v_sub_f16_e32 v8, v8, v28
	v_add_f16_e32 v9, v30, v9
	v_add_f16_e32 v19, v10, v12
	v_sub_f16_e32 v20, v15, v13
	v_add_f16_e32 v13, v13, v15
	v_sub_f16_e32 v10, v12, v10
	;; [unrolled: 2-line block ×4, first 2 shown]
	v_pack_b32_f16 v8, v9, v8
	v_pack_b32_f16 v9, v12, v10
	;; [unrolled: 1-line block ×6, first 2 shown]
	ds_store_2addr_b32 v4, v7, v8 offset1:26
	ds_store_2addr_b32 v4, v9, v10 offset0:52 offset1:78
	ds_store_2addr_b32 v4, v11, v12 offset0:104 offset1:130
	ds_store_b32 v4, v13 offset:624
.LBB0_31:
	s_wait_alu 0xfffe
	s_or_b32 exec_lo, exec_lo, s1
	v_mul_u32_u24_e32 v4, 10, v3
	global_wb scope:SCOPE_SE
	s_wait_dscnt 0x0
	s_barrier_signal -1
	s_barrier_wait -1
	global_inv scope:SCOPE_SE
	v_lshlrev_b32_e32 v4, 2, v4
	v_add_nc_u32_e32 v9, 0x1600, v0
	v_add_nc_u32_e32 v10, 0x500, v0
	;; [unrolled: 1-line block ×3, first 2 shown]
	s_clause 0x2
	global_load_b128 v[12:15], v4, s[8:9] offset:720
	global_load_b128 v[16:19], v4, s[8:9] offset:736
	global_load_b64 v[20:21], v4, s[8:9] offset:752
	v_add_nc_u32_e32 v4, 0x1000, v0
	ds_load_b32 v30, v0 offset:7280
	ds_load_2addr_b32 v[7:8], v0 offset1:182
	ds_load_2addr_b32 v[22:23], v4 offset0:68 offset1:250
	ds_load_2addr_b32 v[24:25], v9 offset0:48 offset1:230
	;; [unrolled: 1-line block ×4, first 2 shown]
	global_wb scope:SCOPE_SE
	s_wait_loadcnt_dscnt 0x0
	s_barrier_signal -1
	s_barrier_wait -1
	global_inv scope:SCOPE_SE
	v_lshrrev_b32_e32 v31, 16, v30
	v_lshrrev_b32_e32 v32, 16, v8
	;; [unrolled: 1-line block ×21, first 2 shown]
	v_mul_f16_e32 v52, v42, v32
	v_mul_f16_e32 v42, v42, v8
	v_mul_f16_e32 v53, v43, v38
	v_mul_f16_e32 v43, v43, v26
	v_mul_f16_e32 v54, v44, v39
	v_mul_f16_e32 v44, v44, v27
	v_mul_f16_e32 v55, v45, v40
	v_mul_f16_e32 v45, v45, v28
	v_mul_f16_e32 v56, v46, v41
	v_mul_f16_e32 v46, v46, v29
	v_mul_f16_e32 v57, v34, v47
	v_mul_f16_e32 v47, v22, v47
	v_mul_f16_e32 v58, v35, v48
	v_mul_f16_e32 v48, v23, v48
	v_mul_f16_e32 v59, v36, v49
	v_mul_f16_e32 v49, v24, v49
	v_mul_f16_e32 v60, v37, v50
	v_mul_f16_e32 v50, v25, v50
	v_mul_f16_e32 v61, v31, v51
	v_mul_f16_e32 v51, v30, v51
	v_fmac_f16_e32 v52, v12, v8
	v_fma_f16 v8, v12, v32, -v42
	v_fmac_f16_e32 v53, v13, v26
	v_fma_f16 v12, v13, v38, -v43
	;; [unrolled: 2-line block ×8, first 2 shown]
	v_fmac_f16_e32 v60, v25, v20
	v_fmac_f16_e32 v61, v30, v21
	v_fma_f16 v19, v31, v21, -v51
	v_fma_f16 v20, v37, v20, -v50
	v_add_f16_e32 v21, v52, v7
	v_add_f16_e32 v22, v8, v33
	;; [unrolled: 1-line block ×5, first 2 shown]
	v_sub_f16_e32 v29, v12, v20
	v_add_f16_e32 v21, v21, v53
	v_add_f16_e32 v12, v22, v12
	v_sub_f16_e32 v8, v8, v19
	v_sub_f16_e32 v25, v52, v61
	v_add_f16_e32 v31, v13, v18
	v_add_f16_e32 v21, v21, v54
	;; [unrolled: 1-line block ×3, first 2 shown]
	v_sub_f16_e32 v34, v13, v18
	v_add_f16_e32 v36, v14, v17
	v_sub_f16_e32 v38, v14, v17
	v_add_f16_e32 v40, v15, v16
	v_sub_f16_e32 v42, v15, v16
	v_mul_f16_e32 v22, 0xb853, v8
	v_mul_f16_e32 v43, 0x3abb, v24
	;; [unrolled: 1-line block ×6, first 2 shown]
	v_add_f16_e32 v21, v21, v55
	v_add_f16_e32 v12, v12, v14
	v_mul_f16_e32 v48, 0xba0c, v8
	v_mul_f16_e32 v49, 0xb93d, v24
	;; [unrolled: 1-line block ×4, first 2 shown]
	v_add_f16_e32 v26, v53, v60
	v_sub_f16_e32 v28, v53, v60
	v_add_f16_e32 v30, v54, v59
	v_sub_f16_e32 v32, v54, v59
	;; [unrolled: 2-line block ×4, first 2 shown]
	v_mul_f16_e32 v50, 0xbb47, v29
	v_mul_f16_e32 v51, 0x36a6, v27
	;; [unrolled: 1-line block ×40, first 2 shown]
	v_fmamk_f16 v13, v23, 0x3abb, v22
	v_fmamk_f16 v54, v25, 0x3853, v43
	v_fma_f16 v22, v23, 0x3abb, -v22
	v_fmac_f16_e32 v43, 0xb853, v25
	v_fmamk_f16 v90, v23, 0x36a6, v44
	v_fmamk_f16 v91, v25, 0x3b47, v45
	v_fma_f16 v44, v23, 0x36a6, -v44
	v_fmac_f16_e32 v45, 0xbb47, v25
	v_fmamk_f16 v92, v23, 0xb08e, v46
	v_fmamk_f16 v93, v25, 0x3beb, v47
	v_add_f16_e32 v21, v21, v56
	v_add_f16_e32 v12, v12, v15
	v_fma_f16 v46, v23, 0xb08e, -v46
	v_fmac_f16_e32 v47, 0xbbeb, v25
	v_fmamk_f16 v94, v23, 0xb93d, v48
	v_fmamk_f16 v95, v25, 0x3a0c, v49
	v_fma_f16 v48, v23, 0xb93d, -v48
	v_fmac_f16_e32 v49, 0xba0c, v25
	v_fmamk_f16 v96, v23, 0xbbad, v8
	v_fmamk_f16 v97, v25, 0x3482, v24
	;; [unrolled: 4-line block ×21, first 2 shown]
	v_fma_f16 v88, v39, 0x36a6, -v88
	v_fmac_f16_e32 v89, 0x3b47, v41
	v_fma_f16 v128, 0xb08e, v39, v42
	v_fma_f16 v129, 0x3beb, v41, v40
	v_fma_f16 v39, v39, 0xb08e, -v42
	v_fmac_f16_e32 v40, 0xbbeb, v41
	v_add_f16_e32 v13, v13, v7
	v_add_f16_e32 v14, v54, v33
	;; [unrolled: 1-line block ×104, first 2 shown]
	v_add_f16_e64 v32, v128, v33
	v_add_f16_e64 v33, v129, v34
	v_add_f16_e32 v7, v39, v7
	v_add_f16_e32 v8, v40, v8
	v_add_f16_e32 v15, v82, v15
	v_add_f16_e32 v16, v83, v16
	v_pack_b32_f16 v13, v13, v14
	v_pack_b32_f16 v14, v17, v18
	v_pack_b32_f16 v17, v24, v25
	v_lshlrev_b32_e32 v12, 16, v12
	v_and_b32_e32 v19, 0xffff, v19
	v_pack_b32_f16 v18, v28, v29
	v_pack_b32_f16 v20, v32, v33
	;; [unrolled: 1-line block ×7, first 2 shown]
	ds_store_2addr_b32 v10, v14, v17 offset0:44 offset1:226
	v_or_b32_e32 v10, v12, v19
	ds_store_2addr_b32 v11, v18, v20 offset0:24 offset1:206
	ds_store_2addr_b32 v4, v7, v8 offset0:68 offset1:250
	;; [unrolled: 1-line block ×3, first 2 shown]
	ds_store_b32 v0, v15 offset:7280
	ds_store_2addr_b32 v0, v10, v13 offset1:182
	global_wb scope:SCOPE_SE
	s_wait_dscnt 0x0
	s_barrier_signal -1
	s_barrier_wait -1
	global_inv scope:SCOPE_SE
	s_and_saveexec_b32 s0, vcc_lo
	s_cbranch_execz .LBB0_33
; %bb.32:
	v_mul_lo_u32 v0, s3, v5
	v_mul_lo_u32 v7, s2, v6
	v_mad_co_u64_u32 v[5:6], null, s2, v5, 0
	v_mov_b32_e32 v4, 0
	v_lshl_add_u32 v33, v3, 2, 0
	ds_load_2addr_b32 v[11:12], v33 offset1:182
	v_add3_u32 v6, v6, v7, v0
	v_add_nc_u32_e32 v7, 0xb6, v3
	v_lshlrev_b64_e32 v[0:1], 2, v[1:2]
	v_lshlrev_b64_e32 v[13:14], 2, v[3:4]
	v_dual_mov_b32 v8, v4 :: v_dual_add_nc_u32 v9, 0x16c, v3
	v_lshlrev_b64_e32 v[5:6], 2, v[5:6]
	v_dual_mov_b32 v10, v4 :: v_dual_add_nc_u32 v15, 0x500, v33
	v_dual_mov_b32 v18, v4 :: v_dual_add_nc_u32 v17, 0x38e, v3
	;; [unrolled: 1-line block ×3, first 2 shown]
	s_delay_alu instid0(VALU_DEP_4) | instskip(SKIP_3) | instid1(VALU_DEP_3)
	v_add_co_u32 v2, vcc_lo, s6, v5
	s_wait_alu 0xfffd
	v_add_co_ci_u32_e32 v5, vcc_lo, s7, v6, vcc_lo
	v_lshlrev_b64_e32 v[9:10], 2, v[9:10]
	v_add_co_u32 v34, vcc_lo, v2, v0
	s_wait_alu 0xfffd
	s_delay_alu instid0(VALU_DEP_3) | instskip(SKIP_1) | instid1(VALU_DEP_3)
	v_add_co_ci_u32_e32 v35, vcc_lo, v5, v1, vcc_lo
	v_lshlrev_b64_e32 v[0:1], 2, v[7:8]
	v_add_co_u32 v5, vcc_lo, v34, v13
	s_wait_alu 0xfffd
	s_delay_alu instid0(VALU_DEP_3)
	v_add_co_ci_u32_e32 v6, vcc_lo, v35, v14, vcc_lo
	v_dual_mov_b32 v14, v4 :: v_dual_add_nc_u32 v13, 0x222, v3
	ds_load_2addr_b32 v[7:8], v15 offset0:44 offset1:226
	v_dual_mov_b32 v16, v4 :: v_dual_add_nc_u32 v15, 0x2d8, v3
	v_add_co_u32 v0, vcc_lo, v34, v0
	v_lshlrev_b64_e32 v[13:14], 2, v[13:14]
	s_wait_alu 0xfffd
	v_add_co_ci_u32_e32 v1, vcc_lo, v35, v1, vcc_lo
	v_add_nc_u32_e32 v2, 0xb00, v33
	v_add_co_u32 v9, vcc_lo, v34, v9
	v_lshlrev_b64_e32 v[15:16], 2, v[15:16]
	s_wait_alu 0xfffd
	v_add_co_ci_u32_e32 v10, vcc_lo, v35, v10, vcc_lo
	v_add_co_u32 v13, vcc_lo, v34, v13
	v_lshlrev_b64_e32 v[17:18], 2, v[17:18]
	ds_load_2addr_b32 v[19:20], v2 offset0:24 offset1:206
	v_add_nc_u32_e32 v2, 0x1000, v33
	v_dual_mov_b32 v26, v4 :: v_dual_add_nc_u32 v25, 0x4fa, v3
	s_wait_alu 0xfffd
	v_add_co_ci_u32_e32 v14, vcc_lo, v35, v14, vcc_lo
	v_add_co_u32 v15, vcc_lo, v34, v15
	v_lshlrev_b64_e32 v[21:22], 2, v[21:22]
	v_dual_mov_b32 v28, v4 :: v_dual_add_nc_u32 v27, 0x5b0, v3
	s_wait_alu 0xfffd
	v_add_co_ci_u32_e32 v16, vcc_lo, v35, v16, vcc_lo
	v_add_co_u32 v17, vcc_lo, v34, v17
	ds_load_2addr_b32 v[23:24], v2 offset0:68 offset1:250
	v_lshlrev_b64_e32 v[25:26], 2, v[25:26]
	v_add_nc_u32_e32 v2, 0x1600, v33
	v_dual_mov_b32 v30, v4 :: v_dual_add_nc_u32 v29, 0x666, v3
	s_wait_alu 0xfffd
	v_add_co_ci_u32_e32 v18, vcc_lo, v35, v18, vcc_lo
	v_add_co_u32 v21, vcc_lo, v34, v21
	v_lshlrev_b64_e32 v[27:28], 2, v[27:28]
	v_add_nc_u32_e32 v3, 0x71c, v3
	s_wait_alu 0xfffd
	v_add_co_ci_u32_e32 v22, vcc_lo, v35, v22, vcc_lo
	ds_load_2addr_b32 v[31:32], v2 offset0:48 offset1:230
	v_add_co_u32 v25, vcc_lo, v34, v25
	v_lshlrev_b64_e32 v[29:30], 2, v[29:30]
	ds_load_b32 v33, v33 offset:7280
	s_wait_alu 0xfffd
	v_add_co_ci_u32_e32 v26, vcc_lo, v35, v26, vcc_lo
	v_add_co_u32 v27, vcc_lo, v34, v27
	v_lshlrev_b64_e32 v[2:3], 2, v[3:4]
	s_wait_alu 0xfffd
	v_add_co_ci_u32_e32 v28, vcc_lo, v35, v28, vcc_lo
	v_add_co_u32 v29, vcc_lo, v34, v29
	s_wait_alu 0xfffd
	v_add_co_ci_u32_e32 v30, vcc_lo, v35, v30, vcc_lo
	v_add_co_u32 v2, vcc_lo, v34, v2
	s_wait_alu 0xfffd
	v_add_co_ci_u32_e32 v3, vcc_lo, v35, v3, vcc_lo
	s_wait_dscnt 0x5
	s_clause 0x1
	global_store_b32 v[5:6], v11, off
	global_store_b32 v[0:1], v12, off
	s_wait_dscnt 0x4
	s_clause 0x1
	global_store_b32 v[9:10], v7, off
	global_store_b32 v[13:14], v8, off
	;; [unrolled: 4-line block ×5, first 2 shown]
	s_wait_dscnt 0x0
	global_store_b32 v[2:3], v33, off
.LBB0_33:
	s_nop 0
	s_sendmsg sendmsg(MSG_DEALLOC_VGPRS)
	s_endpgm
	.section	.rodata,"a",@progbits
	.p2align	6, 0x0
	.amdhsa_kernel fft_rtc_back_len2002_factors_2_13_7_11_wgs_182_tpt_182_halfLds_half_op_CI_CI_unitstride_sbrr_C2R_dirReg
		.amdhsa_group_segment_fixed_size 0
		.amdhsa_private_segment_fixed_size 0
		.amdhsa_kernarg_size 104
		.amdhsa_user_sgpr_count 2
		.amdhsa_user_sgpr_dispatch_ptr 0
		.amdhsa_user_sgpr_queue_ptr 0
		.amdhsa_user_sgpr_kernarg_segment_ptr 1
		.amdhsa_user_sgpr_dispatch_id 0
		.amdhsa_user_sgpr_private_segment_size 0
		.amdhsa_wavefront_size32 1
		.amdhsa_uses_dynamic_stack 0
		.amdhsa_enable_private_segment 0
		.amdhsa_system_sgpr_workgroup_id_x 1
		.amdhsa_system_sgpr_workgroup_id_y 0
		.amdhsa_system_sgpr_workgroup_id_z 0
		.amdhsa_system_sgpr_workgroup_info 0
		.amdhsa_system_vgpr_workitem_id 0
		.amdhsa_next_free_vgpr 150
		.amdhsa_next_free_sgpr 39
		.amdhsa_reserve_vcc 1
		.amdhsa_float_round_mode_32 0
		.amdhsa_float_round_mode_16_64 0
		.amdhsa_float_denorm_mode_32 3
		.amdhsa_float_denorm_mode_16_64 3
		.amdhsa_fp16_overflow 0
		.amdhsa_workgroup_processor_mode 1
		.amdhsa_memory_ordered 1
		.amdhsa_forward_progress 0
		.amdhsa_round_robin_scheduling 0
		.amdhsa_exception_fp_ieee_invalid_op 0
		.amdhsa_exception_fp_denorm_src 0
		.amdhsa_exception_fp_ieee_div_zero 0
		.amdhsa_exception_fp_ieee_overflow 0
		.amdhsa_exception_fp_ieee_underflow 0
		.amdhsa_exception_fp_ieee_inexact 0
		.amdhsa_exception_int_div_zero 0
	.end_amdhsa_kernel
	.text
.Lfunc_end0:
	.size	fft_rtc_back_len2002_factors_2_13_7_11_wgs_182_tpt_182_halfLds_half_op_CI_CI_unitstride_sbrr_C2R_dirReg, .Lfunc_end0-fft_rtc_back_len2002_factors_2_13_7_11_wgs_182_tpt_182_halfLds_half_op_CI_CI_unitstride_sbrr_C2R_dirReg
                                        ; -- End function
	.section	.AMDGPU.csdata,"",@progbits
; Kernel info:
; codeLenInByte = 13164
; NumSgprs: 41
; NumVgprs: 150
; ScratchSize: 0
; MemoryBound: 0
; FloatMode: 240
; IeeeMode: 1
; LDSByteSize: 0 bytes/workgroup (compile time only)
; SGPRBlocks: 5
; VGPRBlocks: 18
; NumSGPRsForWavesPerEU: 41
; NumVGPRsForWavesPerEU: 150
; Occupancy: 9
; WaveLimiterHint : 1
; COMPUTE_PGM_RSRC2:SCRATCH_EN: 0
; COMPUTE_PGM_RSRC2:USER_SGPR: 2
; COMPUTE_PGM_RSRC2:TRAP_HANDLER: 0
; COMPUTE_PGM_RSRC2:TGID_X_EN: 1
; COMPUTE_PGM_RSRC2:TGID_Y_EN: 0
; COMPUTE_PGM_RSRC2:TGID_Z_EN: 0
; COMPUTE_PGM_RSRC2:TIDIG_COMP_CNT: 0
	.text
	.p2alignl 7, 3214868480
	.fill 96, 4, 3214868480
	.type	__hip_cuid_75aa3d5ee766d5fa,@object ; @__hip_cuid_75aa3d5ee766d5fa
	.section	.bss,"aw",@nobits
	.globl	__hip_cuid_75aa3d5ee766d5fa
__hip_cuid_75aa3d5ee766d5fa:
	.byte	0                               ; 0x0
	.size	__hip_cuid_75aa3d5ee766d5fa, 1

	.ident	"AMD clang version 19.0.0git (https://github.com/RadeonOpenCompute/llvm-project roc-6.4.0 25133 c7fe45cf4b819c5991fe208aaa96edf142730f1d)"
	.section	".note.GNU-stack","",@progbits
	.addrsig
	.addrsig_sym __hip_cuid_75aa3d5ee766d5fa
	.amdgpu_metadata
---
amdhsa.kernels:
  - .args:
      - .actual_access:  read_only
        .address_space:  global
        .offset:         0
        .size:           8
        .value_kind:     global_buffer
      - .offset:         8
        .size:           8
        .value_kind:     by_value
      - .actual_access:  read_only
        .address_space:  global
        .offset:         16
        .size:           8
        .value_kind:     global_buffer
      - .actual_access:  read_only
        .address_space:  global
        .offset:         24
        .size:           8
        .value_kind:     global_buffer
      - .actual_access:  read_only
        .address_space:  global
        .offset:         32
        .size:           8
        .value_kind:     global_buffer
      - .offset:         40
        .size:           8
        .value_kind:     by_value
      - .actual_access:  read_only
        .address_space:  global
        .offset:         48
        .size:           8
        .value_kind:     global_buffer
      - .actual_access:  read_only
        .address_space:  global
        .offset:         56
        .size:           8
        .value_kind:     global_buffer
      - .offset:         64
        .size:           4
        .value_kind:     by_value
      - .actual_access:  read_only
        .address_space:  global
        .offset:         72
        .size:           8
        .value_kind:     global_buffer
      - .actual_access:  read_only
        .address_space:  global
        .offset:         80
        .size:           8
        .value_kind:     global_buffer
      - .actual_access:  read_only
        .address_space:  global
        .offset:         88
        .size:           8
        .value_kind:     global_buffer
      - .actual_access:  write_only
        .address_space:  global
        .offset:         96
        .size:           8
        .value_kind:     global_buffer
    .group_segment_fixed_size: 0
    .kernarg_segment_align: 8
    .kernarg_segment_size: 104
    .language:       OpenCL C
    .language_version:
      - 2
      - 0
    .max_flat_workgroup_size: 182
    .name:           fft_rtc_back_len2002_factors_2_13_7_11_wgs_182_tpt_182_halfLds_half_op_CI_CI_unitstride_sbrr_C2R_dirReg
    .private_segment_fixed_size: 0
    .sgpr_count:     41
    .sgpr_spill_count: 0
    .symbol:         fft_rtc_back_len2002_factors_2_13_7_11_wgs_182_tpt_182_halfLds_half_op_CI_CI_unitstride_sbrr_C2R_dirReg.kd
    .uniform_work_group_size: 1
    .uses_dynamic_stack: false
    .vgpr_count:     150
    .vgpr_spill_count: 0
    .wavefront_size: 32
    .workgroup_processor_mode: 1
amdhsa.target:   amdgcn-amd-amdhsa--gfx1201
amdhsa.version:
  - 1
  - 2
...

	.end_amdgpu_metadata
